;; amdgpu-corpus repo=LLNL/RAJAPerf kind=compiled arch=gfx1030 opt=O3
	.amdgcn_target "amdgcn-amd-amdhsa--gfx1030"
	.amdhsa_code_object_version 6
	.section	.text._ZN8rajaperf4apps17intsc_hexrect_hipILm64EEEvPdS2_S2_PiPcS3_S3_lS2_,"axG",@progbits,_ZN8rajaperf4apps17intsc_hexrect_hipILm64EEEvPdS2_S2_PiPcS3_S3_lS2_,comdat
	.protected	_ZN8rajaperf4apps17intsc_hexrect_hipILm64EEEvPdS2_S2_PiPcS3_S3_lS2_ ; -- Begin function _ZN8rajaperf4apps17intsc_hexrect_hipILm64EEEvPdS2_S2_PiPcS3_S3_lS2_
	.globl	_ZN8rajaperf4apps17intsc_hexrect_hipILm64EEEvPdS2_S2_PiPcS3_S3_lS2_
	.p2align	8
	.type	_ZN8rajaperf4apps17intsc_hexrect_hipILm64EEEvPdS2_S2_PiPcS3_S3_lS2_,@function
_ZN8rajaperf4apps17intsc_hexrect_hipILm64EEEvPdS2_S2_PiPcS3_S3_lS2_: ; @_ZN8rajaperf4apps17intsc_hexrect_hipILm64EEEvPdS2_S2_PiPcS3_S3_lS2_
; %bb.0:
	s_load_dwordx16 s[8:23], s[4:5], 0x0
	s_add_u32 s0, s0, s7
	s_mov_b32 s7, 0
	s_addc_u32 s1, s1, 0
	s_lshl_b64 s[24:25], s[6:7], 6
	s_mov_b32 s6, exec_lo
	v_or_b32_e32 v31, s24, v0
	v_mov_b32_e32 v32, s25
	s_waitcnt lgkmcnt(0)
	v_cmpx_gt_i64_e64 s[22:23], v[31:32]
	s_cbranch_execz .LBB0_344
; %bb.1:
	v_lshlrev_b64 v[9:10], 2, v[31:32]
	s_or_b32 s22, 0xd0, 8
	s_movk_i32 s23, 0x100
	s_movk_i32 s24, 0xe0
	;; [unrolled: 1-line block ×4, first 2 shown]
	v_add_co_u32 v1, vcc_lo, s18, v9
	v_add_co_ci_u32_e64 v2, null, s19, v10, vcc_lo
	s_mov_b64 s[18:19], 0
	global_load_dword v1, v[1:2], off
	s_waitcnt vmcnt(0)
	v_lshlrev_b32_e32 v1, 3, v1
	v_ashrrev_i32_e32 v2, 31, v1
	v_lshlrev_b64 v[1:2], 2, v[1:2]
	v_add_co_u32 v5, vcc_lo, s14, v1
	v_add_co_ci_u32_e64 v6, null, s15, v2, vcc_lo
	v_add_co_u32 v9, vcc_lo, s20, v9
	v_add_co_ci_u32_e64 v10, null, s21, v10, vcc_lo
	s_clause 0x1
	global_load_dwordx4 v[1:4], v[5:6], off
	global_load_dwordx4 v[5:8], v[5:6], off offset:16
	s_movk_i32 s20, 0xf8
	s_movk_i32 s21, 0xe8
	global_load_dword v55, v[9:10], off
	s_waitcnt vmcnt(2)
	v_ashrrev_i32_e32 v10, 31, v1
	v_mov_b32_e32 v9, v1
	v_ashrrev_i32_e32 v12, 31, v2
	v_mov_b32_e32 v11, v2
	v_ashrrev_i32_e32 v2, 31, v3
	v_mov_b32_e32 v1, v3
	v_ashrrev_i32_e32 v14, 31, v4
	v_mov_b32_e32 v13, v4
	s_waitcnt vmcnt(1)
	v_ashrrev_i32_e32 v4, 31, v5
	v_mov_b32_e32 v3, v5
	v_ashrrev_i32_e32 v16, 31, v6
	v_mov_b32_e32 v15, v6
	;; [unrolled: 2-line block ×4, first 2 shown]
	v_lshlrev_b64 v[7:8], 3, v[9:10]
	v_lshlrev_b64 v[9:10], 3, v[11:12]
	v_lshlrev_b64 v[11:12], 3, v[13:14]
	v_lshlrev_b64 v[13:14], 3, v[15:16]
	v_lshlrev_b64 v[15:16], 3, v[17:18]
	v_lshlrev_b64 v[1:2], 3, v[1:2]
	v_add_co_u32 v17, vcc_lo, s8, v7
	v_add_co_ci_u32_e64 v18, null, s9, v8, vcc_lo
	v_add_co_u32 v19, vcc_lo, s10, v7
	v_add_co_ci_u32_e64 v20, null, s11, v8, vcc_lo
	;; [unrolled: 2-line block ×8, first 2 shown]
	v_add_co_u32 v1, vcc_lo, s12, v1
	v_lshlrev_b64 v[3:4], 3, v[3:4]
	v_add_co_ci_u32_e64 v2, null, s13, v2, vcc_lo
	v_add_co_u32 v29, vcc_lo, s8, v11
	v_add_co_ci_u32_e64 v30, null, s9, v12, vcc_lo
	v_add_co_u32 v33, vcc_lo, s10, v11
	;; [unrolled: 2-line block ×6, first 2 shown]
	v_lshlrev_b64 v[5:6], 3, v[5:6]
	v_add_co_ci_u32_e64 v4, null, s13, v4, vcc_lo
	v_add_co_u32 v39, vcc_lo, s8, v13
	v_add_co_ci_u32_e64 v40, null, s9, v14, vcc_lo
	v_add_co_u32 v41, vcc_lo, s10, v13
	;; [unrolled: 2-line block ×9, first 2 shown]
	v_add_co_ci_u32_e64 v16, null, s13, v16, vcc_lo
	global_load_dwordx2 v[17:18], v[17:18], off
	global_load_dwordx2 v[19:20], v[19:20], off
	;; [unrolled: 1-line block ×24, first 2 shown]
	s_clause 0x1
	s_load_dwordx2 s[12:13], s[16:17], 0x4
	s_load_dwordx4 s[8:11], s[16:17], 0x10
	s_waitcnt vmcnt(24)
	v_sub_nc_u32_e32 v53, 0, v55
	v_max_i32_e32 v56, v55, v53
	s_waitcnt lgkmcnt(0)
	s_abs_i32 s6, s13
	v_cvt_f32_u32_e32 v51, s6
	s_sub_i32 s14, 0, s6
	v_rcp_iflag_f32_e32 v51, v51
	v_mul_f32_e32 v51, 0x4f7ffffe, v51
	v_cvt_u32_f32_e32 v51, v51
	v_mul_lo_u32 v52, s14, v51
	s_abs_i32 s14, s12
	v_cvt_f32_u32_e32 v53, s14
	v_mul_hi_u32 v52, v51, v52
	v_rcp_iflag_f32_e32 v53, v53
	v_add_nc_u32_e32 v51, v51, v52
	v_mul_f32_e32 v53, 0x4f7ffffe, v53
	v_mul_hi_u32 v51, v56, v51
	v_cvt_u32_f32_e32 v53, v53
	v_mul_lo_u32 v52, v51, s6
	v_add_nc_u32_e32 v54, 1, v51
	v_sub_nc_u32_e32 v52, v56, v52
	v_subrev_nc_u32_e32 v57, s6, v52
	v_cmp_le_u32_e32 vcc_lo, s6, v52
	v_cndmask_b32_e32 v51, v51, v54, vcc_lo
	v_cndmask_b32_e32 v52, v52, v57, vcc_lo
	v_xor_b32_e32 v54, s13, v55
	v_add_nc_u32_e32 v57, 1, v51
	v_cmp_le_u32_e32 vcc_lo, s6, v52
	v_ashrrev_i32_e32 v54, 31, v54
	s_sub_i32 s6, 0, s14
	v_mul_lo_u32 v52, s6, v53
	v_cndmask_b32_e32 v51, v51, v57, vcc_lo
	s_mul_i32 s6, s13, s12
	v_xor_b32_e32 v51, v51, v54
	v_mul_hi_u32 v52, v53, v52
	v_sub_nc_u32_e32 v51, v51, v54
	v_sub_nc_u32_e32 v54, 0, v51
	v_add_nc_u32_e32 v52, v53, v52
	v_max_i32_e32 v53, v51, v54
	v_ashrrev_i32_e32 v54, 31, v51
	v_mul_lo_u32 v51, v51, s13
	v_mul_hi_u32 v52, v53, v52
	v_sub_nc_u32_e32 v51, v55, v51
	v_mul_lo_u32 v52, v52, s14
	v_sub_nc_u32_e32 v52, v53, v52
	v_subrev_nc_u32_e32 v53, s14, v52
	v_cmp_le_u32_e32 vcc_lo, s14, v52
	v_cndmask_b32_e32 v52, v52, v53, vcc_lo
	v_subrev_nc_u32_e32 v53, s14, v52
	v_cmp_le_u32_e32 vcc_lo, s14, v52
	s_load_dwordx2 s[14:15], s[16:17], 0x20
	s_waitcnt vmcnt(23)
	buffer_store_dword v18, off, s[0:3], 0 offset:212
	buffer_store_dword v17, off, s[0:3], 0 offset:208
	s_waitcnt vmcnt(22)
	buffer_store_dword v20, off, s[0:3], 0 offset:276
	buffer_store_dword v19, off, s[0:3], 0 offset:272
	;; [unrolled: 3-line block ×24, first 2 shown]
	v_cndmask_b32_e32 v52, v52, v53, vcc_lo
	v_mov_b32_e32 v39, 0
	v_xor_b32_e32 v52, v52, v54
	v_sub_nc_u32_e32 v53, v52, v54
	v_ashrrev_i32_e32 v52, 31, v51
	v_ashrrev_i32_e32 v54, 31, v53
	v_lshlrev_b64 v[51:52], 3, v[51:52]
	v_lshlrev_b64 v[53:54], 3, v[53:54]
	s_waitcnt lgkmcnt(0)
	v_add_co_u32 v51, vcc_lo, s14, v51
	v_add_co_ci_u32_e64 v52, null, s15, v52, vcc_lo
	v_add_co_u32 v53, vcc_lo, s10, v53
	v_add_co_ci_u32_e64 v54, null, s11, v54, vcc_lo
	flat_load_dwordx4 v[1:4], v[51:52]
	flat_load_dwordx4 v[5:8], v[53:54]
	s_abs_i32 s10, s6
	v_cvt_f32_u32_e32 v9, s10
	s_sub_i32 s11, 0, s10
	v_rcp_iflag_f32_e32 v9, v9
	v_mul_f32_e32 v9, 0x4f7ffffe, v9
	v_cvt_u32_f32_e32 v9, v9
	v_mul_lo_u32 v10, s11, v9
	v_mul_hi_u32 v10, v9, v10
	v_add_nc_u32_e32 v9, v9, v10
	v_mul_hi_u32 v9, v56, v9
	v_mul_lo_u32 v10, v9, s10
	v_add_nc_u32_e32 v11, 1, v9
	v_sub_nc_u32_e32 v10, v56, v10
	v_subrev_nc_u32_e32 v12, s10, v10
	v_cmp_le_u32_e32 vcc_lo, s10, v10
	v_cndmask_b32_e32 v9, v9, v11, vcc_lo
	v_cndmask_b32_e32 v10, v10, v12, vcc_lo
	v_xor_b32_e32 v11, s6, v55
	v_add_nc_u32_e32 v12, 1, v9
	v_cmp_le_u32_e32 vcc_lo, s10, v10
	v_ashrrev_i32_e32 v11, 31, v11
	v_cndmask_b32_e32 v9, v9, v12, vcc_lo
	v_xor_b32_e32 v9, v9, v11
	v_sub_nc_u32_e32 v9, v9, v11
	v_ashrrev_i32_e32 v10, 31, v9
	v_lshlrev_b64 v[9:10], 3, v[9:10]
	v_add_co_u32 v9, vcc_lo, s8, v9
	v_add_co_ci_u32_e64 v10, null, s9, v10, vcc_lo
	s_mov_b32 s8, 0x174d6123
	s_mov_b32 s9, 0x2f52f8ac
	flat_load_dwordx4 v[9:12], v[9:10]
	s_waitcnt vmcnt(2) lgkmcnt(2)
	v_add_f64 v[13:14], v[3:4], -v[1:2]
	s_waitcnt vmcnt(1) lgkmcnt(1)
	v_add_f64 v[15:16], v[7:8], -v[5:6]
	v_mul_f64 v[3:4], v[13:14], v[15:16]
	v_fma_f64 v[7:8], v[3:4], v[3:4], s[8:9]
	v_div_scale_f64 v[17:18], null, v[7:8], v[7:8], v[3:4]
	v_div_scale_f64 v[23:24], vcc_lo, v[3:4], v[7:8], v[3:4]
	v_rcp_f64_e32 v[19:20], v[17:18]
	v_fma_f64 v[21:22], -v[17:18], v[19:20], 1.0
	v_fma_f64 v[19:20], v[19:20], v[21:22], v[19:20]
	v_fma_f64 v[21:22], -v[17:18], v[19:20], 1.0
	v_fma_f64 v[19:20], v[19:20], v[21:22], v[19:20]
	v_mul_f64 v[21:22], v[23:24], v[19:20]
	v_fma_f64 v[17:18], -v[17:18], v[21:22], v[23:24]
	v_div_fmas_f64 v[17:18], v[17:18], v[19:20], v[21:22]
	s_waitcnt vmcnt(0) lgkmcnt(0)
	v_cmp_gt_f64_e32 vcc_lo, v[11:12], v[9:10]
	v_div_fixup_f64 v[7:8], v[17:18], v[7:8], v[3:4]
	v_add_f64 v[17:18], v[11:12], -v[9:10]
	v_mov_b32_e32 v11, 0
	buffer_store_dword v11, off, s[0:3], 0 offset:8
	buffer_store_dword v11, off, s[0:3], 0 offset:4
	buffer_store_dword v11, off, s[0:3], 0
	v_mul_f64 v[33:34], v[15:16], v[7:8]
	v_mul_f64 v[7:8], v[13:14], v[7:8]
	v_cndmask_b32_e32 v36, 0, v18, vcc_lo
	v_cndmask_b32_e32 v35, 0, v17, vcc_lo
	s_branch .LBB0_5
.LBB0_2:                                ;   in Loop: Header=BB0_5 Depth=1
	s_or_b32 exec_lo, exec_lo, s13
.LBB0_3:                                ;   in Loop: Header=BB0_5 Depth=1
	s_or_b32 exec_lo, exec_lo, s12
	buffer_load_dword v12, v11, s[0:3], 0 offen
	s_waitcnt vmcnt(0)
	v_lshl_or_b32 v12, 8, s7, v12
	buffer_store_dword v12, v11, s[0:3], 0 offen
.LBB0_4:                                ;   in Loop: Header=BB0_5 Depth=1
	s_or_b32 exec_lo, exec_lo, s27
	s_add_i32 s7, s7, 4
	s_add_u32 s18, s18, 1
	s_addc_u32 s19, s19, 0
	s_cmp_lg_u64 s[18:19], 6
	s_cbranch_scc0 .LBB0_123
.LBB0_5:                                ; =>This Inner Loop Header: Depth=1
	s_cmp_lt_i32 s18, 2
	s_cbranch_scc1 .LBB0_12
; %bb.6:                                ;   in Loop: Header=BB0_5 Depth=1
	s_cmp_gt_i32 s18, 2
	s_cbranch_scc0 .LBB0_13
; %bb.7:                                ;   in Loop: Header=BB0_5 Depth=1
	s_mov_b32 s8, -1
	s_mov_b32 s11, 0
	s_cmp_gt_i32 s18, 3
	s_mov_b32 s6, 0
	s_cbranch_scc0 .LBB0_10
; %bb.8:                                ;   in Loop: Header=BB0_5 Depth=1
	s_cmp_eq_u32 s18, 4
	s_mov_b32 s6, -1
	s_cbranch_scc0 .LBB0_15
; %bb.9:                                ;   in Loop: Header=BB0_5 Depth=1
	s_mov_b32 s6, 0
	s_mov_b32 s8, 0
.LBB0_10:                               ;   in Loop: Header=BB0_5 Depth=1
	s_and_b32 vcc_lo, exec_lo, s8
	s_cbranch_vccz .LBB0_16
; %bb.11:                               ;   in Loop: Header=BB0_5 Depth=1
	s_mov_b32 s11, 2
	s_mov_b32 s12, 3
	;; [unrolled: 1-line block ×8, first 2 shown]
	s_branch .LBB0_17
.LBB0_12:                               ;   in Loop: Header=BB0_5 Depth=1
	s_mov_b32 s6, 0
                                        ; implicit-def: $sgpr9
                                        ; implicit-def: $sgpr8
                                        ; implicit-def: $sgpr10
                                        ; implicit-def: $sgpr14
                                        ; implicit-def: $sgpr12
                                        ; implicit-def: $sgpr15
                                        ; implicit-def: $sgpr11
                                        ; implicit-def: $sgpr13
	s_cbranch_execnz .LBB0_18
	s_branch .LBB0_22
.LBB0_13:                               ;   in Loop: Header=BB0_5 Depth=1
	s_mov_b32 s6, 0
                                        ; implicit-def: $sgpr9
                                        ; implicit-def: $sgpr8
                                        ; implicit-def: $sgpr10
                                        ; implicit-def: $sgpr14
                                        ; implicit-def: $sgpr12
                                        ; implicit-def: $sgpr15
                                        ; implicit-def: $sgpr11
                                        ; implicit-def: $sgpr13
	s_cbranch_execz .LBB0_17
; %bb.14:                               ;   in Loop: Header=BB0_5 Depth=1
	s_movk_i32 s13, 0xd0
	s_mov_b32 s11, 0
	s_mov_b32 s12, 4
	;; [unrolled: 1-line block ×7, first 2 shown]
	s_branch .LBB0_22
.LBB0_15:                               ;   in Loop: Header=BB0_5 Depth=1
.LBB0_16:                               ;   in Loop: Header=BB0_5 Depth=1
	s_movk_i32 s13, 0xd0
	s_mov_b32 s12, 1
	s_mov_b32 s10, 3
	;; [unrolled: 1-line block ×6, first 2 shown]
.LBB0_17:                               ;   in Loop: Header=BB0_5 Depth=1
	s_branch .LBB0_22
.LBB0_18:                               ;   in Loop: Header=BB0_5 Depth=1
	s_cmp_gt_i32 s18, 0
	s_mov_b32 s8, -1
	s_cbranch_scc0 .LBB0_20
; %bb.19:                               ;   in Loop: Header=BB0_5 Depth=1
	s_mov_b32 s8, 0
.LBB0_20:                               ;   in Loop: Header=BB0_5 Depth=1
	s_andn2_b32 vcc_lo, exec_lo, s8
	s_mov_b32 s11, 1
	s_cbranch_vccnz .LBB0_43
; %bb.21:                               ;   in Loop: Header=BB0_5 Depth=1
	s_cmp_lg_u32 s18, 0
	s_movk_i32 s13, 0xd0
	s_mov_b32 s12, 2
	s_mov_b32 s10, 6
	s_mov_b32 s9, 4
	s_cselect_b32 s6, -1, 0
	s_mov_b32 s8, s25
	s_mov_b32 s14, s23
	;; [unrolled: 1-line block ×4, first 2 shown]
.LBB0_22:                               ;   in Loop: Header=BB0_5 Depth=1
	s_and_b32 vcc_lo, exec_lo, s6
	s_cbranch_vccz .LBB0_24
.LBB0_23:                               ;   in Loop: Header=BB0_5 Depth=1
	s_mov_b32 s9, 5
	s_mov_b32 s10, 7
	;; [unrolled: 1-line block ×8, first 2 shown]
.LBB0_24:                               ;   in Loop: Header=BB0_5 Depth=1
	v_mov_b32_e32 v12, s13
	v_mov_b32_e32 v18, s15
	;; [unrolled: 1-line block ×4, first 2 shown]
	s_clause 0x7
	buffer_load_dword v11, v12, s[0:3], 0 offen
	buffer_load_dword v12, v12, s[0:3], 0 offen offset:4
	buffer_load_dword v17, v18, s[0:3], 0 offen
	buffer_load_dword v18, v18, s[0:3], 0 offen offset:4
	;; [unrolled: 2-line block ×4, first 2 shown]
	s_waitcnt vmcnt(4)
	v_add_f64 v[23:24], v[11:12], v[17:18]
	v_add_f64 v[11:12], v[11:12], -v[1:2]
	s_waitcnt vmcnt(2)
	v_add_f64 v[19:20], v[23:24], v[19:20]
	v_add_f64 v[23:24], v[17:18], -v[1:2]
	s_waitcnt vmcnt(0)
	v_add_f64 v[19:20], v[19:20], v[21:22]
	v_fma_f64 v[21:22], 0x3fd00000, v[19:20], -v[1:2]
	v_mul_f64 v[19:20], v[33:34], v[11:12]
	v_mul_f64 v[11:12], v[33:34], v[23:24]
	;; [unrolled: 1-line block ×3, first 2 shown]
	v_cmp_ngt_f64_e32 vcc_lo, 0, v[19:20]
	v_cmp_ngt_f64_e64 s8, 0, v[11:12]
	v_cmp_ngt_f64_e64 s6, 0, v[17:18]
	s_or_b32 s6, vcc_lo, s6
	s_or_b32 s6, s6, s8
	s_and_saveexec_b32 s27, s6
	s_cbranch_execz .LBB0_34
; %bb.25:                               ;   in Loop: Header=BB0_5 Depth=1
	v_cmp_nle_f64_e32 vcc_lo, 1.0, v[19:20]
	v_cmp_nle_f64_e64 s6, 1.0, v[17:18]
	v_cmp_nle_f64_e64 s8, 1.0, v[11:12]
	s_or_b32 s6, vcc_lo, s6
	s_or_b32 s6, s6, s8
	s_and_b32 exec_lo, exec_lo, s6
	s_cbranch_execz .LBB0_34
; %bb.26:                               ;   in Loop: Header=BB0_5 Depth=1
	s_lshl_b32 s6, s11, 3
	s_lshl_b32 s8, s12, 3
	s_add_i32 s12, s6, 0xd0
	s_add_i32 s11, s8, 0xd0
	v_mov_b32_e32 v22, s12
	v_mov_b32_e32 v24, s11
	s_lshl_b32 s6, s10, 3
	s_clause 0x3
	buffer_load_dword v21, v22, s[0:3], 0 offen offset:64
	buffer_load_dword v22, v22, s[0:3], 0 offen offset:68
	buffer_load_dword v23, v24, s[0:3], 0 offen offset:64
	buffer_load_dword v24, v24, s[0:3], 0 offen offset:68
	s_add_i32 s10, s6, 0xd0
	s_lshl_b32 s6, s9, 3
	v_mov_b32_e32 v26, s10
	s_clause 0x1
	buffer_load_dword v25, v26, s[0:3], 0 offen offset:64
	buffer_load_dword v26, v26, s[0:3], 0 offen offset:68
	s_add_i32 s9, s6, 0xd0
	v_mov_b32_e32 v28, s9
	s_clause 0x1
	buffer_load_dword v27, v28, s[0:3], 0 offen offset:64
	buffer_load_dword v28, v28, s[0:3], 0 offen offset:68
	s_waitcnt vmcnt(4)
	v_add_f64 v[29:30], v[21:22], v[23:24]
	v_add_f64 v[21:22], v[21:22], -v[5:6]
	s_waitcnt vmcnt(2)
	v_add_f64 v[25:26], v[29:30], v[25:26]
	v_add_f64 v[29:30], v[23:24], -v[5:6]
	s_waitcnt vmcnt(0)
	v_add_f64 v[25:26], v[25:26], v[27:28]
	v_fma_f64 v[27:28], 0x3fd00000, v[25:26], -v[5:6]
	v_mul_f64 v[25:26], v[7:8], v[21:22]
	v_mul_f64 v[21:22], v[7:8], v[29:30]
	;; [unrolled: 1-line block ×3, first 2 shown]
	v_cmp_ngt_f64_e32 vcc_lo, 0, v[25:26]
	v_cmp_ngt_f64_e64 s8, 0, v[21:22]
	v_cmp_ngt_f64_e64 s6, 0, v[23:24]
	s_or_b32 s6, vcc_lo, s6
	s_or_b32 s6, s6, s8
	s_and_b32 exec_lo, exec_lo, s6
	s_cbranch_execz .LBB0_34
; %bb.27:                               ;   in Loop: Header=BB0_5 Depth=1
	v_cmp_nle_f64_e32 vcc_lo, 1.0, v[25:26]
	v_cmp_nle_f64_e64 s6, 1.0, v[23:24]
	v_cmp_nle_f64_e64 s8, 1.0, v[21:22]
	s_or_b32 s6, vcc_lo, s6
	s_or_b32 s6, s6, s8
	s_and_b32 exec_lo, exec_lo, s6
	s_cbranch_execz .LBB0_34
; %bb.28:                               ;   in Loop: Header=BB0_5 Depth=1
	v_mov_b32_e32 v28, s12
	v_mov_b32_e32 v29, s11
	v_mov_b32_e32 v30, s10
	v_mov_b32_e32 v38, s9
	s_clause 0x7
	buffer_load_dword v27, v28, s[0:3], 0 offen offset:128
	buffer_load_dword v28, v28, s[0:3], 0 offen offset:132
	;; [unrolled: 1-line block ×8, first 2 shown]
	s_waitcnt vmcnt(4)
	v_add_f64 v[42:43], v[27:28], v[40:41]
	s_waitcnt vmcnt(2)
	v_add_f64 v[29:30], v[42:43], v[29:30]
	;; [unrolled: 2-line block ×3, first 2 shown]
	v_add_f64 v[37:38], v[27:28], -v[9:10]
	v_add_f64 v[27:28], v[40:41], -v[9:10]
	v_fma_f64 v[29:30], 0x3fd00000, v[29:30], -v[9:10]
	v_cmp_ngt_f64_e32 vcc_lo, 0, v[37:38]
	v_cmp_ngt_f64_e64 s8, 0, v[27:28]
	v_cmp_ngt_f64_e64 s6, 0, v[29:30]
	s_or_b32 s6, vcc_lo, s6
	s_or_b32 s6, s6, s8
	s_and_b32 exec_lo, exec_lo, s6
	s_cbranch_execz .LBB0_34
; %bb.29:                               ;   in Loop: Header=BB0_5 Depth=1
	v_cmp_le_f64_e32 vcc_lo, 0, v[19:20]
	v_cmp_le_f64_e64 s6, 0, v[17:18]
	v_cmp_le_f64_e64 s8, 0, v[11:12]
	v_cmp_gt_f64_e64 s9, 1.0, v[19:20]
	v_cmp_gt_f64_e64 s10, 1.0, v[17:18]
	;; [unrolled: 1-line block ×3, first 2 shown]
	v_cmp_le_f64_e64 s12, 0, v[25:26]
	v_cmp_le_f64_e64 s13, 0, v[23:24]
	;; [unrolled: 1-line block ×3, first 2 shown]
	v_cmp_gt_f64_e64 s15, 1.0, v[25:26]
	v_cmp_gt_f64_e64 s16, 1.0, v[23:24]
	;; [unrolled: 1-line block ×3, first 2 shown]
	v_mov_b32_e32 v11, 8
	s_and_b32 s6, vcc_lo, s6
	s_and_b32 s6, s6, s8
	s_and_b32 s6, s9, s6
	s_and_b32 s6, s6, s10
	s_and_b32 s6, s6, s11
	s_and_b32 s6, s12, s6
	s_and_b32 s6, s6, s13
	s_and_b32 s6, s6, s14
	s_and_b32 s6, s15, s6
	s_and_b32 s6, s6, s16
	s_and_b32 s6, s6, s17
	s_and_saveexec_b32 s12, s6
	s_cbranch_execz .LBB0_33
; %bb.30:                               ;   in Loop: Header=BB0_5 Depth=1
	v_cmp_nge_f64_e32 vcc_lo, v[37:38], v[35:36]
	v_cmp_nge_f64_e64 s6, v[29:30], v[35:36]
	v_cmp_nge_f64_e64 s8, v[27:28], v[35:36]
	v_mov_b32_e32 v11, 4
	s_or_b32 s6, vcc_lo, s6
	s_or_b32 s6, s6, s8
	s_and_saveexec_b32 s13, s6
	s_cbranch_execz .LBB0_32
; %bb.31:                               ;   in Loop: Header=BB0_5 Depth=1
	v_cmp_le_f64_e32 vcc_lo, 0, v[37:38]
	v_cmp_le_f64_e64 s6, 0, v[29:30]
	v_cmp_le_f64_e64 s8, 0, v[27:28]
	v_cmp_lt_f64_e64 s9, v[37:38], v[35:36]
	v_cmp_lt_f64_e64 s10, v[29:30], v[35:36]
	;; [unrolled: 1-line block ×3, first 2 shown]
	s_and_b32 s6, vcc_lo, s6
	s_and_b32 s6, s6, s8
	s_and_b32 s6, s9, s6
	;; [unrolled: 1-line block ×3, first 2 shown]
	s_and_b32 vcc_lo, s6, s11
	v_cndmask_b32_e32 v11, 8, v39, vcc_lo
.LBB0_32:                               ;   in Loop: Header=BB0_5 Depth=1
	s_or_b32 exec_lo, exec_lo, s13
.LBB0_33:                               ;   in Loop: Header=BB0_5 Depth=1
	s_or_b32 exec_lo, exec_lo, s12
	buffer_load_dword v12, v11, s[0:3], 0 offen
	s_waitcnt vmcnt(0)
	v_lshl_or_b32 v12, 1, s7, v12
	buffer_store_dword v12, v11, s[0:3], 0 offen
.LBB0_34:                               ;   in Loop: Header=BB0_5 Depth=1
	s_or_b32 exec_lo, exec_lo, s27
	s_cmp_lt_i32 s18, 2
	s_cbranch_scc1 .LBB0_42
; %bb.35:                               ;   in Loop: Header=BB0_5 Depth=1
	s_cmp_gt_i32 s18, 2
	s_cbranch_scc0 .LBB0_44
; %bb.36:                               ;   in Loop: Header=BB0_5 Depth=1
	s_mov_b32 s8, -1
	s_mov_b32 s11, 0
	s_cmp_gt_i32 s18, 3
	s_mov_b32 s6, 0
	s_cbranch_scc0 .LBB0_40
; %bb.37:                               ;   in Loop: Header=BB0_5 Depth=1
	s_cmp_eq_u32 s18, 4
	s_mov_b32 s6, -1
	s_cbranch_scc0 .LBB0_39
; %bb.38:                               ;   in Loop: Header=BB0_5 Depth=1
	s_mov_b32 s6, 0
.LBB0_39:                               ;   in Loop: Header=BB0_5 Depth=1
	s_mov_b32 s8, 0
.LBB0_40:                               ;   in Loop: Header=BB0_5 Depth=1
	s_and_b32 vcc_lo, exec_lo, s8
	s_cbranch_vccz .LBB0_46
; %bb.41:                               ;   in Loop: Header=BB0_5 Depth=1
	s_mov_b32 s11, 2
	s_mov_b32 s12, 3
	;; [unrolled: 1-line block ×8, first 2 shown]
	s_branch .LBB0_47
.LBB0_42:                               ;   in Loop: Header=BB0_5 Depth=1
	s_mov_b32 s6, 0
                                        ; implicit-def: $sgpr9
                                        ; implicit-def: $sgpr8
                                        ; implicit-def: $sgpr10
                                        ; implicit-def: $sgpr14
                                        ; implicit-def: $sgpr12
                                        ; implicit-def: $sgpr15
                                        ; implicit-def: $sgpr11
                                        ; implicit-def: $sgpr13
	s_cbranch_execnz .LBB0_48
	s_branch .LBB0_52
.LBB0_43:                               ;   in Loop: Header=BB0_5 Depth=1
	s_mov_b32 s12, 5
	s_mov_b32 s10, 7
	;; [unrolled: 1-line block ×7, first 2 shown]
	s_and_b32 vcc_lo, exec_lo, s6
	s_cbranch_vccnz .LBB0_23
	s_branch .LBB0_24
.LBB0_44:                               ;   in Loop: Header=BB0_5 Depth=1
	s_mov_b32 s6, 0
                                        ; implicit-def: $sgpr9
                                        ; implicit-def: $sgpr8
                                        ; implicit-def: $sgpr10
                                        ; implicit-def: $sgpr14
                                        ; implicit-def: $sgpr12
                                        ; implicit-def: $sgpr15
                                        ; implicit-def: $sgpr11
                                        ; implicit-def: $sgpr13
	s_cbranch_execz .LBB0_47
; %bb.45:                               ;   in Loop: Header=BB0_5 Depth=1
	s_movk_i32 s13, 0xd0
	s_mov_b32 s11, 0
	s_mov_b32 s12, 4
	;; [unrolled: 1-line block ×7, first 2 shown]
	s_branch .LBB0_52
.LBB0_46:                               ;   in Loop: Header=BB0_5 Depth=1
	s_movk_i32 s13, 0xd0
	s_mov_b32 s12, 1
	s_mov_b32 s10, 3
	;; [unrolled: 1-line block ×6, first 2 shown]
.LBB0_47:                               ;   in Loop: Header=BB0_5 Depth=1
	s_branch .LBB0_52
.LBB0_48:                               ;   in Loop: Header=BB0_5 Depth=1
	s_cmp_gt_i32 s18, 0
	s_mov_b32 s8, -1
	s_cbranch_scc0 .LBB0_50
; %bb.49:                               ;   in Loop: Header=BB0_5 Depth=1
	s_mov_b32 s8, 0
.LBB0_50:                               ;   in Loop: Header=BB0_5 Depth=1
	s_andn2_b32 vcc_lo, exec_lo, s8
	s_mov_b32 s11, 1
	s_cbranch_vccnz .LBB0_73
; %bb.51:                               ;   in Loop: Header=BB0_5 Depth=1
	s_cmp_lg_u32 s18, 0
	s_movk_i32 s13, 0xd0
	s_mov_b32 s12, 2
	s_mov_b32 s10, 6
	;; [unrolled: 1-line block ×3, first 2 shown]
	s_cselect_b32 s6, -1, 0
	s_mov_b32 s8, s25
	s_mov_b32 s14, s23
	;; [unrolled: 1-line block ×4, first 2 shown]
.LBB0_52:                               ;   in Loop: Header=BB0_5 Depth=1
	s_and_b32 vcc_lo, exec_lo, s6
	s_cbranch_vccz .LBB0_54
.LBB0_53:                               ;   in Loop: Header=BB0_5 Depth=1
	s_mov_b32 s9, 5
	s_mov_b32 s10, 7
	;; [unrolled: 1-line block ×8, first 2 shown]
.LBB0_54:                               ;   in Loop: Header=BB0_5 Depth=1
	v_mov_b32_e32 v12, s13
	v_mov_b32_e32 v18, s15
	;; [unrolled: 1-line block ×4, first 2 shown]
	s_clause 0x7
	buffer_load_dword v11, v12, s[0:3], 0 offen
	buffer_load_dword v12, v12, s[0:3], 0 offen offset:4
	buffer_load_dword v17, v18, s[0:3], 0 offen
	buffer_load_dword v18, v18, s[0:3], 0 offen offset:4
	;; [unrolled: 2-line block ×4, first 2 shown]
	s_waitcnt vmcnt(4)
	v_add_f64 v[11:12], v[11:12], v[17:18]
	v_add_f64 v[17:18], v[17:18], -v[1:2]
	s_waitcnt vmcnt(2)
	v_add_f64 v[11:12], v[11:12], v[19:20]
	s_waitcnt vmcnt(0)
	v_add_f64 v[11:12], v[11:12], v[21:22]
	v_add_f64 v[21:22], v[19:20], -v[1:2]
	v_mul_f64 v[19:20], v[33:34], v[17:18]
	v_fma_f64 v[11:12], 0x3fd00000, v[11:12], -v[1:2]
	v_cmp_ngt_f64_e32 vcc_lo, 0, v[19:20]
	v_mul_f64 v[17:18], v[33:34], v[11:12]
	v_mul_f64 v[11:12], v[33:34], v[21:22]
	v_cmp_ngt_f64_e64 s6, 0, v[17:18]
	v_cmp_ngt_f64_e64 s8, 0, v[11:12]
	s_or_b32 s6, vcc_lo, s6
	s_or_b32 s6, s6, s8
	s_and_saveexec_b32 s27, s6
	s_cbranch_execz .LBB0_64
; %bb.55:                               ;   in Loop: Header=BB0_5 Depth=1
	v_cmp_nle_f64_e32 vcc_lo, 1.0, v[19:20]
	v_cmp_nle_f64_e64 s6, 1.0, v[17:18]
	v_cmp_nle_f64_e64 s8, 1.0, v[11:12]
	s_or_b32 s6, vcc_lo, s6
	s_or_b32 s6, s6, s8
	s_and_b32 exec_lo, exec_lo, s6
	s_cbranch_execz .LBB0_64
; %bb.56:                               ;   in Loop: Header=BB0_5 Depth=1
	s_lshl_b32 s6, s11, 3
	s_lshl_b32 s8, s12, 3
	s_add_i32 s12, s6, 0xd0
	s_add_i32 s11, s8, 0xd0
	v_mov_b32_e32 v22, s12
	v_mov_b32_e32 v24, s11
	s_lshl_b32 s6, s10, 3
	s_clause 0x3
	buffer_load_dword v21, v22, s[0:3], 0 offen offset:64
	buffer_load_dword v22, v22, s[0:3], 0 offen offset:68
	;; [unrolled: 1-line block ×4, first 2 shown]
	s_add_i32 s10, s6, 0xd0
	s_lshl_b32 s6, s9, 3
	v_mov_b32_e32 v26, s10
	s_clause 0x1
	buffer_load_dword v25, v26, s[0:3], 0 offen offset:64
	buffer_load_dword v26, v26, s[0:3], 0 offen offset:68
	s_add_i32 s9, s6, 0xd0
	v_mov_b32_e32 v28, s9
	s_clause 0x1
	buffer_load_dword v27, v28, s[0:3], 0 offen offset:64
	buffer_load_dword v28, v28, s[0:3], 0 offen offset:68
	s_waitcnt vmcnt(4)
	v_add_f64 v[21:22], v[21:22], v[23:24]
	v_add_f64 v[23:24], v[23:24], -v[5:6]
	s_waitcnt vmcnt(2)
	v_add_f64 v[21:22], v[21:22], v[25:26]
	s_waitcnt vmcnt(0)
	v_add_f64 v[21:22], v[21:22], v[27:28]
	v_add_f64 v[27:28], v[25:26], -v[5:6]
	v_mul_f64 v[25:26], v[7:8], v[23:24]
	v_fma_f64 v[21:22], 0x3fd00000, v[21:22], -v[5:6]
	v_cmp_ngt_f64_e32 vcc_lo, 0, v[25:26]
	v_mul_f64 v[23:24], v[7:8], v[21:22]
	v_mul_f64 v[21:22], v[7:8], v[27:28]
	v_cmp_ngt_f64_e64 s6, 0, v[23:24]
	v_cmp_ngt_f64_e64 s8, 0, v[21:22]
	s_or_b32 s6, vcc_lo, s6
	s_or_b32 s6, s6, s8
	s_and_b32 exec_lo, exec_lo, s6
	s_cbranch_execz .LBB0_64
; %bb.57:                               ;   in Loop: Header=BB0_5 Depth=1
	v_cmp_nle_f64_e32 vcc_lo, 1.0, v[25:26]
	v_cmp_nle_f64_e64 s6, 1.0, v[23:24]
	v_cmp_nle_f64_e64 s8, 1.0, v[21:22]
	s_or_b32 s6, vcc_lo, s6
	s_or_b32 s6, s6, s8
	s_and_b32 exec_lo, exec_lo, s6
	s_cbranch_execz .LBB0_64
; %bb.58:                               ;   in Loop: Header=BB0_5 Depth=1
	v_mov_b32_e32 v28, s12
	v_mov_b32_e32 v30, s11
	v_mov_b32_e32 v37, s10
	v_mov_b32_e32 v38, s9
	s_clause 0x7
	buffer_load_dword v27, v28, s[0:3], 0 offen offset:128
	buffer_load_dword v28, v28, s[0:3], 0 offen offset:132
	;; [unrolled: 1-line block ×8, first 2 shown]
	s_waitcnt vmcnt(4)
	v_add_f64 v[27:28], v[27:28], v[29:30]
	s_waitcnt vmcnt(2)
	v_add_f64 v[27:28], v[27:28], v[40:41]
	s_waitcnt vmcnt(0)
	v_add_f64 v[27:28], v[27:28], v[37:38]
	v_add_f64 v[37:38], v[29:30], -v[9:10]
	v_fma_f64 v[29:30], 0x3fd00000, v[27:28], -v[9:10]
	v_add_f64 v[27:28], v[40:41], -v[9:10]
	v_cmp_ngt_f64_e32 vcc_lo, 0, v[37:38]
	v_cmp_ngt_f64_e64 s6, 0, v[29:30]
	v_cmp_ngt_f64_e64 s8, 0, v[27:28]
	s_or_b32 s6, vcc_lo, s6
	s_or_b32 s6, s6, s8
	s_and_b32 exec_lo, exec_lo, s6
	s_cbranch_execz .LBB0_64
; %bb.59:                               ;   in Loop: Header=BB0_5 Depth=1
	v_cmp_le_f64_e32 vcc_lo, 0, v[19:20]
	v_cmp_le_f64_e64 s6, 0, v[17:18]
	v_cmp_le_f64_e64 s8, 0, v[11:12]
	v_cmp_gt_f64_e64 s9, 1.0, v[19:20]
	v_cmp_gt_f64_e64 s10, 1.0, v[17:18]
	;; [unrolled: 1-line block ×3, first 2 shown]
	v_cmp_le_f64_e64 s12, 0, v[25:26]
	v_cmp_le_f64_e64 s13, 0, v[23:24]
	;; [unrolled: 1-line block ×3, first 2 shown]
	v_cmp_gt_f64_e64 s15, 1.0, v[25:26]
	v_cmp_gt_f64_e64 s16, 1.0, v[23:24]
	;; [unrolled: 1-line block ×3, first 2 shown]
	v_mov_b32_e32 v11, 8
	s_and_b32 s6, vcc_lo, s6
	s_and_b32 s6, s6, s8
	s_and_b32 s6, s9, s6
	;; [unrolled: 1-line block ×10, first 2 shown]
	s_and_saveexec_b32 s12, s6
	s_cbranch_execz .LBB0_63
; %bb.60:                               ;   in Loop: Header=BB0_5 Depth=1
	v_cmp_nge_f64_e32 vcc_lo, v[37:38], v[35:36]
	v_cmp_nge_f64_e64 s6, v[29:30], v[35:36]
	v_cmp_nge_f64_e64 s8, v[27:28], v[35:36]
	v_mov_b32_e32 v11, 4
	s_or_b32 s6, vcc_lo, s6
	s_or_b32 s6, s6, s8
	s_and_saveexec_b32 s13, s6
	s_cbranch_execz .LBB0_62
; %bb.61:                               ;   in Loop: Header=BB0_5 Depth=1
	v_cmp_le_f64_e32 vcc_lo, 0, v[37:38]
	v_cmp_le_f64_e64 s6, 0, v[29:30]
	v_cmp_le_f64_e64 s8, 0, v[27:28]
	v_cmp_lt_f64_e64 s9, v[37:38], v[35:36]
	v_cmp_lt_f64_e64 s10, v[29:30], v[35:36]
	;; [unrolled: 1-line block ×3, first 2 shown]
	s_and_b32 s6, vcc_lo, s6
	s_and_b32 s6, s6, s8
	s_and_b32 s6, s9, s6
	;; [unrolled: 1-line block ×3, first 2 shown]
	s_and_b32 vcc_lo, s6, s11
	v_cndmask_b32_e32 v11, 8, v39, vcc_lo
.LBB0_62:                               ;   in Loop: Header=BB0_5 Depth=1
	s_or_b32 exec_lo, exec_lo, s13
.LBB0_63:                               ;   in Loop: Header=BB0_5 Depth=1
	s_or_b32 exec_lo, exec_lo, s12
	buffer_load_dword v12, v11, s[0:3], 0 offen
	s_waitcnt vmcnt(0)
	v_lshl_or_b32 v12, 2, s7, v12
	buffer_store_dword v12, v11, s[0:3], 0 offen
.LBB0_64:                               ;   in Loop: Header=BB0_5 Depth=1
	s_or_b32 exec_lo, exec_lo, s27
	s_cmp_lt_i32 s18, 2
	s_cbranch_scc1 .LBB0_72
; %bb.65:                               ;   in Loop: Header=BB0_5 Depth=1
	s_cmp_gt_i32 s18, 2
	s_cbranch_scc0 .LBB0_74
; %bb.66:                               ;   in Loop: Header=BB0_5 Depth=1
	s_mov_b32 s8, -1
	s_mov_b32 s11, 0
	s_cmp_gt_i32 s18, 3
	s_mov_b32 s6, 0
	s_cbranch_scc0 .LBB0_70
; %bb.67:                               ;   in Loop: Header=BB0_5 Depth=1
	s_cmp_eq_u32 s18, 4
	s_mov_b32 s6, -1
	s_cbranch_scc0 .LBB0_69
; %bb.68:                               ;   in Loop: Header=BB0_5 Depth=1
	s_mov_b32 s6, 0
.LBB0_69:                               ;   in Loop: Header=BB0_5 Depth=1
	s_mov_b32 s8, 0
.LBB0_70:                               ;   in Loop: Header=BB0_5 Depth=1
	s_and_b32 vcc_lo, exec_lo, s8
	s_cbranch_vccz .LBB0_76
; %bb.71:                               ;   in Loop: Header=BB0_5 Depth=1
	s_mov_b32 s11, 2
	s_mov_b32 s12, 3
	;; [unrolled: 1-line block ×8, first 2 shown]
	s_branch .LBB0_77
.LBB0_72:                               ;   in Loop: Header=BB0_5 Depth=1
	s_mov_b32 s6, 0
                                        ; implicit-def: $sgpr9
                                        ; implicit-def: $sgpr8
                                        ; implicit-def: $sgpr10
                                        ; implicit-def: $sgpr14
                                        ; implicit-def: $sgpr12
                                        ; implicit-def: $sgpr15
                                        ; implicit-def: $sgpr11
                                        ; implicit-def: $sgpr13
	s_cbranch_execnz .LBB0_78
	s_branch .LBB0_82
.LBB0_73:                               ;   in Loop: Header=BB0_5 Depth=1
	s_mov_b32 s12, 5
	s_mov_b32 s10, 7
	s_mov_b32 s9, 3
	s_mov_b32 s8, s21
	s_mov_b32 s14, s26
	s_mov_b32 s15, s20
	s_mov_b32 s13, s22
	s_and_b32 vcc_lo, exec_lo, s6
	s_cbranch_vccnz .LBB0_53
	s_branch .LBB0_54
.LBB0_74:                               ;   in Loop: Header=BB0_5 Depth=1
	s_mov_b32 s6, 0
                                        ; implicit-def: $sgpr9
                                        ; implicit-def: $sgpr8
                                        ; implicit-def: $sgpr10
                                        ; implicit-def: $sgpr14
                                        ; implicit-def: $sgpr12
                                        ; implicit-def: $sgpr15
                                        ; implicit-def: $sgpr11
                                        ; implicit-def: $sgpr13
	s_cbranch_execz .LBB0_77
; %bb.75:                               ;   in Loop: Header=BB0_5 Depth=1
	s_movk_i32 s13, 0xd0
	s_mov_b32 s11, 0
	s_mov_b32 s12, 4
	;; [unrolled: 1-line block ×7, first 2 shown]
	s_branch .LBB0_82
.LBB0_76:                               ;   in Loop: Header=BB0_5 Depth=1
	s_movk_i32 s13, 0xd0
	s_mov_b32 s12, 1
	s_mov_b32 s10, 3
	;; [unrolled: 1-line block ×6, first 2 shown]
.LBB0_77:                               ;   in Loop: Header=BB0_5 Depth=1
	s_branch .LBB0_82
.LBB0_78:                               ;   in Loop: Header=BB0_5 Depth=1
	s_cmp_gt_i32 s18, 0
	s_mov_b32 s8, -1
	s_cbranch_scc0 .LBB0_80
; %bb.79:                               ;   in Loop: Header=BB0_5 Depth=1
	s_mov_b32 s8, 0
.LBB0_80:                               ;   in Loop: Header=BB0_5 Depth=1
	s_andn2_b32 vcc_lo, exec_lo, s8
	s_mov_b32 s11, 1
	s_cbranch_vccnz .LBB0_103
; %bb.81:                               ;   in Loop: Header=BB0_5 Depth=1
	s_cmp_lg_u32 s18, 0
	s_movk_i32 s13, 0xd0
	s_mov_b32 s12, 2
	s_mov_b32 s10, 6
	s_mov_b32 s9, 4
	s_cselect_b32 s6, -1, 0
	s_mov_b32 s8, s25
	s_mov_b32 s14, s23
	;; [unrolled: 1-line block ×4, first 2 shown]
.LBB0_82:                               ;   in Loop: Header=BB0_5 Depth=1
	s_and_b32 vcc_lo, exec_lo, s6
	s_cbranch_vccz .LBB0_84
.LBB0_83:                               ;   in Loop: Header=BB0_5 Depth=1
	s_mov_b32 s9, 5
	s_mov_b32 s10, 7
	;; [unrolled: 1-line block ×8, first 2 shown]
.LBB0_84:                               ;   in Loop: Header=BB0_5 Depth=1
	v_mov_b32_e32 v12, s13
	v_mov_b32_e32 v18, s15
	;; [unrolled: 1-line block ×4, first 2 shown]
	s_clause 0x7
	buffer_load_dword v11, v12, s[0:3], 0 offen
	buffer_load_dword v12, v12, s[0:3], 0 offen offset:4
	buffer_load_dword v17, v18, s[0:3], 0 offen
	buffer_load_dword v18, v18, s[0:3], 0 offen offset:4
	;; [unrolled: 2-line block ×4, first 2 shown]
	s_waitcnt vmcnt(4)
	v_add_f64 v[11:12], v[11:12], v[17:18]
	s_waitcnt vmcnt(2)
	v_add_f64 v[17:18], v[19:20], -v[1:2]
	v_add_f64 v[11:12], v[11:12], v[19:20]
	v_mul_f64 v[19:20], v[33:34], v[17:18]
	s_waitcnt vmcnt(0)
	v_add_f64 v[11:12], v[11:12], v[21:22]
	v_add_f64 v[21:22], v[21:22], -v[1:2]
	v_cmp_ngt_f64_e32 vcc_lo, 0, v[19:20]
	v_fma_f64 v[11:12], 0x3fd00000, v[11:12], -v[1:2]
	v_mul_f64 v[17:18], v[33:34], v[11:12]
	v_mul_f64 v[11:12], v[33:34], v[21:22]
	v_cmp_ngt_f64_e64 s6, 0, v[17:18]
	v_cmp_ngt_f64_e64 s8, 0, v[11:12]
	s_or_b32 s6, vcc_lo, s6
	s_or_b32 s6, s6, s8
	s_and_saveexec_b32 s27, s6
	s_cbranch_execz .LBB0_94
; %bb.85:                               ;   in Loop: Header=BB0_5 Depth=1
	v_cmp_nle_f64_e32 vcc_lo, 1.0, v[19:20]
	v_cmp_nle_f64_e64 s6, 1.0, v[17:18]
	v_cmp_nle_f64_e64 s8, 1.0, v[11:12]
	s_or_b32 s6, vcc_lo, s6
	s_or_b32 s6, s6, s8
	s_and_b32 exec_lo, exec_lo, s6
	s_cbranch_execz .LBB0_94
; %bb.86:                               ;   in Loop: Header=BB0_5 Depth=1
	s_lshl_b32 s6, s11, 3
	s_lshl_b32 s8, s12, 3
	s_add_i32 s12, s6, 0xd0
	s_add_i32 s11, s8, 0xd0
	v_mov_b32_e32 v22, s12
	v_mov_b32_e32 v24, s11
	s_lshl_b32 s6, s10, 3
	s_clause 0x3
	buffer_load_dword v21, v22, s[0:3], 0 offen offset:64
	buffer_load_dword v22, v22, s[0:3], 0 offen offset:68
	;; [unrolled: 1-line block ×4, first 2 shown]
	s_add_i32 s10, s6, 0xd0
	s_lshl_b32 s6, s9, 3
	v_mov_b32_e32 v26, s10
	s_clause 0x1
	buffer_load_dword v25, v26, s[0:3], 0 offen offset:64
	buffer_load_dword v26, v26, s[0:3], 0 offen offset:68
	s_add_i32 s9, s6, 0xd0
	v_mov_b32_e32 v28, s9
	s_clause 0x1
	buffer_load_dword v27, v28, s[0:3], 0 offen offset:64
	buffer_load_dword v28, v28, s[0:3], 0 offen offset:68
	s_waitcnt vmcnt(4)
	v_add_f64 v[21:22], v[21:22], v[23:24]
	s_waitcnt vmcnt(2)
	v_add_f64 v[23:24], v[25:26], -v[5:6]
	v_add_f64 v[21:22], v[21:22], v[25:26]
	v_mul_f64 v[25:26], v[7:8], v[23:24]
	s_waitcnt vmcnt(0)
	v_add_f64 v[21:22], v[21:22], v[27:28]
	v_add_f64 v[27:28], v[27:28], -v[5:6]
	v_cmp_ngt_f64_e32 vcc_lo, 0, v[25:26]
	v_fma_f64 v[21:22], 0x3fd00000, v[21:22], -v[5:6]
	v_mul_f64 v[23:24], v[7:8], v[21:22]
	v_mul_f64 v[21:22], v[7:8], v[27:28]
	v_cmp_ngt_f64_e64 s6, 0, v[23:24]
	v_cmp_ngt_f64_e64 s8, 0, v[21:22]
	s_or_b32 s6, vcc_lo, s6
	s_or_b32 s6, s6, s8
	s_and_b32 exec_lo, exec_lo, s6
	s_cbranch_execz .LBB0_94
; %bb.87:                               ;   in Loop: Header=BB0_5 Depth=1
	v_cmp_nle_f64_e32 vcc_lo, 1.0, v[25:26]
	v_cmp_nle_f64_e64 s6, 1.0, v[23:24]
	v_cmp_nle_f64_e64 s8, 1.0, v[21:22]
	s_or_b32 s6, vcc_lo, s6
	s_or_b32 s6, s6, s8
	s_and_b32 exec_lo, exec_lo, s6
	s_cbranch_execz .LBB0_94
; %bb.88:                               ;   in Loop: Header=BB0_5 Depth=1
	v_mov_b32_e32 v28, s12
	v_mov_b32_e32 v30, s11
	;; [unrolled: 1-line block ×4, first 2 shown]
	s_clause 0x7
	buffer_load_dword v27, v28, s[0:3], 0 offen offset:128
	buffer_load_dword v28, v28, s[0:3], 0 offen offset:132
	;; [unrolled: 1-line block ×8, first 2 shown]
	s_waitcnt vmcnt(4)
	v_add_f64 v[27:28], v[27:28], v[29:30]
	s_waitcnt vmcnt(2)
	v_add_f64 v[27:28], v[27:28], v[37:38]
	v_add_f64 v[37:38], v[37:38], -v[9:10]
	s_waitcnt vmcnt(0)
	v_add_f64 v[27:28], v[27:28], v[40:41]
	v_cmp_ngt_f64_e32 vcc_lo, 0, v[37:38]
	v_fma_f64 v[29:30], 0x3fd00000, v[27:28], -v[9:10]
	v_add_f64 v[27:28], v[40:41], -v[9:10]
	v_cmp_ngt_f64_e64 s6, 0, v[29:30]
	v_cmp_ngt_f64_e64 s8, 0, v[27:28]
	s_or_b32 s6, vcc_lo, s6
	s_or_b32 s6, s6, s8
	s_and_b32 exec_lo, exec_lo, s6
	s_cbranch_execz .LBB0_94
; %bb.89:                               ;   in Loop: Header=BB0_5 Depth=1
	v_cmp_le_f64_e32 vcc_lo, 0, v[19:20]
	v_cmp_le_f64_e64 s6, 0, v[17:18]
	v_cmp_le_f64_e64 s8, 0, v[11:12]
	v_cmp_gt_f64_e64 s9, 1.0, v[19:20]
	v_cmp_gt_f64_e64 s10, 1.0, v[17:18]
	v_cmp_gt_f64_e64 s11, 1.0, v[11:12]
	v_cmp_le_f64_e64 s12, 0, v[25:26]
	v_cmp_le_f64_e64 s13, 0, v[23:24]
	v_cmp_le_f64_e64 s14, 0, v[21:22]
	v_cmp_gt_f64_e64 s15, 1.0, v[25:26]
	v_cmp_gt_f64_e64 s16, 1.0, v[23:24]
	;; [unrolled: 1-line block ×3, first 2 shown]
	v_mov_b32_e32 v11, 8
	s_and_b32 s6, vcc_lo, s6
	s_and_b32 s6, s6, s8
	s_and_b32 s6, s9, s6
	;; [unrolled: 1-line block ×10, first 2 shown]
	s_and_saveexec_b32 s12, s6
	s_cbranch_execz .LBB0_93
; %bb.90:                               ;   in Loop: Header=BB0_5 Depth=1
	v_cmp_nge_f64_e32 vcc_lo, v[37:38], v[35:36]
	v_cmp_nge_f64_e64 s6, v[29:30], v[35:36]
	v_cmp_nge_f64_e64 s8, v[27:28], v[35:36]
	v_mov_b32_e32 v11, 4
	s_or_b32 s6, vcc_lo, s6
	s_or_b32 s6, s6, s8
	s_and_saveexec_b32 s13, s6
	s_cbranch_execz .LBB0_92
; %bb.91:                               ;   in Loop: Header=BB0_5 Depth=1
	v_cmp_le_f64_e32 vcc_lo, 0, v[37:38]
	v_cmp_le_f64_e64 s6, 0, v[29:30]
	v_cmp_le_f64_e64 s8, 0, v[27:28]
	v_cmp_lt_f64_e64 s9, v[37:38], v[35:36]
	v_cmp_lt_f64_e64 s10, v[29:30], v[35:36]
	;; [unrolled: 1-line block ×3, first 2 shown]
	s_and_b32 s6, vcc_lo, s6
	s_and_b32 s6, s6, s8
	s_and_b32 s6, s9, s6
	;; [unrolled: 1-line block ×3, first 2 shown]
	s_and_b32 vcc_lo, s6, s11
	v_cndmask_b32_e32 v11, 8, v39, vcc_lo
.LBB0_92:                               ;   in Loop: Header=BB0_5 Depth=1
	s_or_b32 exec_lo, exec_lo, s13
.LBB0_93:                               ;   in Loop: Header=BB0_5 Depth=1
	s_or_b32 exec_lo, exec_lo, s12
	buffer_load_dword v12, v11, s[0:3], 0 offen
	s_waitcnt vmcnt(0)
	v_lshl_or_b32 v12, 4, s7, v12
	buffer_store_dword v12, v11, s[0:3], 0 offen
.LBB0_94:                               ;   in Loop: Header=BB0_5 Depth=1
	s_or_b32 exec_lo, exec_lo, s27
	s_cmp_lt_i32 s18, 2
	s_cbranch_scc1 .LBB0_102
; %bb.95:                               ;   in Loop: Header=BB0_5 Depth=1
	s_cmp_gt_i32 s18, 2
	s_cbranch_scc0 .LBB0_104
; %bb.96:                               ;   in Loop: Header=BB0_5 Depth=1
	s_mov_b32 s8, -1
	s_mov_b32 s11, 0
	s_cmp_gt_i32 s18, 3
	s_mov_b32 s6, 0
	s_cbranch_scc0 .LBB0_100
; %bb.97:                               ;   in Loop: Header=BB0_5 Depth=1
	s_cmp_eq_u32 s18, 4
	s_mov_b32 s6, -1
	s_cbranch_scc0 .LBB0_99
; %bb.98:                               ;   in Loop: Header=BB0_5 Depth=1
	s_mov_b32 s6, 0
.LBB0_99:                               ;   in Loop: Header=BB0_5 Depth=1
	s_mov_b32 s8, 0
.LBB0_100:                              ;   in Loop: Header=BB0_5 Depth=1
	s_and_b32 vcc_lo, exec_lo, s8
	s_cbranch_vccz .LBB0_106
; %bb.101:                              ;   in Loop: Header=BB0_5 Depth=1
	s_mov_b32 s11, 2
	s_mov_b32 s12, 3
	;; [unrolled: 1-line block ×8, first 2 shown]
	s_branch .LBB0_107
.LBB0_102:                              ;   in Loop: Header=BB0_5 Depth=1
	s_mov_b32 s6, 0
                                        ; implicit-def: $sgpr9
                                        ; implicit-def: $sgpr8
                                        ; implicit-def: $sgpr10
                                        ; implicit-def: $sgpr14
                                        ; implicit-def: $sgpr12
                                        ; implicit-def: $sgpr15
                                        ; implicit-def: $sgpr11
                                        ; implicit-def: $sgpr13
	s_cbranch_execnz .LBB0_108
	s_branch .LBB0_112
.LBB0_103:                              ;   in Loop: Header=BB0_5 Depth=1
	s_mov_b32 s12, 5
	s_mov_b32 s10, 7
	;; [unrolled: 1-line block ×7, first 2 shown]
	s_and_b32 vcc_lo, exec_lo, s6
	s_cbranch_vccnz .LBB0_83
	s_branch .LBB0_84
.LBB0_104:                              ;   in Loop: Header=BB0_5 Depth=1
	s_mov_b32 s6, 0
                                        ; implicit-def: $sgpr9
                                        ; implicit-def: $sgpr8
                                        ; implicit-def: $sgpr10
                                        ; implicit-def: $sgpr14
                                        ; implicit-def: $sgpr12
                                        ; implicit-def: $sgpr15
                                        ; implicit-def: $sgpr11
                                        ; implicit-def: $sgpr13
	s_cbranch_execz .LBB0_107
; %bb.105:                              ;   in Loop: Header=BB0_5 Depth=1
	s_movk_i32 s13, 0xd0
	s_mov_b32 s11, 0
	s_mov_b32 s12, 4
	;; [unrolled: 1-line block ×7, first 2 shown]
	s_branch .LBB0_112
.LBB0_106:                              ;   in Loop: Header=BB0_5 Depth=1
	s_movk_i32 s13, 0xd0
	s_mov_b32 s12, 1
	s_mov_b32 s10, 3
	;; [unrolled: 1-line block ×6, first 2 shown]
.LBB0_107:                              ;   in Loop: Header=BB0_5 Depth=1
	s_branch .LBB0_112
.LBB0_108:                              ;   in Loop: Header=BB0_5 Depth=1
	s_cmp_gt_i32 s18, 0
	s_mov_b32 s8, -1
	s_cbranch_scc0 .LBB0_110
; %bb.109:                              ;   in Loop: Header=BB0_5 Depth=1
	s_mov_b32 s8, 0
.LBB0_110:                              ;   in Loop: Header=BB0_5 Depth=1
	s_andn2_b32 vcc_lo, exec_lo, s8
	s_mov_b32 s11, 1
	s_cbranch_vccnz .LBB0_122
; %bb.111:                              ;   in Loop: Header=BB0_5 Depth=1
	s_cmp_lg_u32 s18, 0
	s_movk_i32 s13, 0xd0
	s_mov_b32 s12, 2
	s_mov_b32 s10, 6
	;; [unrolled: 1-line block ×3, first 2 shown]
	s_cselect_b32 s6, -1, 0
	s_mov_b32 s8, s25
	s_mov_b32 s14, s23
	;; [unrolled: 1-line block ×4, first 2 shown]
.LBB0_112:                              ;   in Loop: Header=BB0_5 Depth=1
	s_and_b32 vcc_lo, exec_lo, s6
	s_cbranch_vccz .LBB0_114
.LBB0_113:                              ;   in Loop: Header=BB0_5 Depth=1
	s_mov_b32 s9, 5
	s_mov_b32 s10, 7
	;; [unrolled: 1-line block ×8, first 2 shown]
.LBB0_114:                              ;   in Loop: Header=BB0_5 Depth=1
	v_mov_b32_e32 v12, s13
	v_mov_b32_e32 v18, s15
	;; [unrolled: 1-line block ×4, first 2 shown]
	s_clause 0x7
	buffer_load_dword v11, v12, s[0:3], 0 offen
	buffer_load_dword v12, v12, s[0:3], 0 offen offset:4
	buffer_load_dword v17, v18, s[0:3], 0 offen
	buffer_load_dword v18, v18, s[0:3], 0 offen offset:4
	;; [unrolled: 2-line block ×4, first 2 shown]
	s_waitcnt vmcnt(4)
	v_add_f64 v[17:18], v[11:12], v[17:18]
	v_add_f64 v[11:12], v[11:12], -v[1:2]
	s_waitcnt vmcnt(2)
	v_add_f64 v[17:18], v[17:18], v[19:20]
	s_waitcnt vmcnt(0)
	v_add_f64 v[19:20], v[21:22], -v[1:2]
	v_mul_f64 v[11:12], v[33:34], v[11:12]
	v_add_f64 v[17:18], v[17:18], v[21:22]
	v_mul_f64 v[19:20], v[33:34], v[19:20]
	v_cmp_ngt_f64_e64 s8, 0, v[11:12]
	v_fma_f64 v[17:18], 0x3fd00000, v[17:18], -v[1:2]
	v_cmp_ngt_f64_e32 vcc_lo, 0, v[19:20]
	v_mul_f64 v[17:18], v[33:34], v[17:18]
	v_cmp_ngt_f64_e64 s6, 0, v[17:18]
	s_or_b32 s6, vcc_lo, s6
	s_or_b32 s6, s6, s8
	s_and_saveexec_b32 s27, s6
	s_cbranch_execz .LBB0_4
; %bb.115:                              ;   in Loop: Header=BB0_5 Depth=1
	v_cmp_nle_f64_e32 vcc_lo, 1.0, v[19:20]
	v_cmp_nle_f64_e64 s6, 1.0, v[17:18]
	v_cmp_nle_f64_e64 s8, 1.0, v[11:12]
	s_or_b32 s6, vcc_lo, s6
	s_or_b32 s6, s6, s8
	s_and_b32 exec_lo, exec_lo, s6
	s_cbranch_execz .LBB0_4
; %bb.116:                              ;   in Loop: Header=BB0_5 Depth=1
	s_lshl_b32 s6, s11, 3
	s_lshl_b32 s8, s12, 3
	s_add_i32 s12, s6, 0xd0
	s_add_i32 s11, s8, 0xd0
	v_mov_b32_e32 v22, s12
	v_mov_b32_e32 v24, s11
	s_lshl_b32 s6, s10, 3
	s_clause 0x3
	buffer_load_dword v21, v22, s[0:3], 0 offen offset:64
	buffer_load_dword v22, v22, s[0:3], 0 offen offset:68
	;; [unrolled: 1-line block ×4, first 2 shown]
	s_add_i32 s10, s6, 0xd0
	s_lshl_b32 s6, s9, 3
	v_mov_b32_e32 v26, s10
	s_clause 0x1
	buffer_load_dword v25, v26, s[0:3], 0 offen offset:64
	buffer_load_dword v26, v26, s[0:3], 0 offen offset:68
	s_add_i32 s9, s6, 0xd0
	v_mov_b32_e32 v28, s9
	s_clause 0x1
	buffer_load_dword v27, v28, s[0:3], 0 offen offset:64
	buffer_load_dword v28, v28, s[0:3], 0 offen offset:68
	s_waitcnt vmcnt(4)
	v_add_f64 v[23:24], v[21:22], v[23:24]
	v_add_f64 v[21:22], v[21:22], -v[5:6]
	s_waitcnt vmcnt(2)
	v_add_f64 v[23:24], v[23:24], v[25:26]
	s_waitcnt vmcnt(0)
	v_add_f64 v[25:26], v[27:28], -v[5:6]
	v_mul_f64 v[21:22], v[7:8], v[21:22]
	v_add_f64 v[23:24], v[23:24], v[27:28]
	v_mul_f64 v[25:26], v[7:8], v[25:26]
	v_cmp_ngt_f64_e64 s8, 0, v[21:22]
	v_fma_f64 v[23:24], 0x3fd00000, v[23:24], -v[5:6]
	v_cmp_ngt_f64_e32 vcc_lo, 0, v[25:26]
	v_mul_f64 v[23:24], v[7:8], v[23:24]
	v_cmp_ngt_f64_e64 s6, 0, v[23:24]
	s_or_b32 s6, vcc_lo, s6
	s_or_b32 s6, s6, s8
	s_and_b32 exec_lo, exec_lo, s6
	s_cbranch_execz .LBB0_4
; %bb.117:                              ;   in Loop: Header=BB0_5 Depth=1
	v_cmp_nle_f64_e32 vcc_lo, 1.0, v[25:26]
	v_cmp_nle_f64_e64 s6, 1.0, v[23:24]
	v_cmp_nle_f64_e64 s8, 1.0, v[21:22]
	s_or_b32 s6, vcc_lo, s6
	s_or_b32 s6, s6, s8
	s_and_b32 exec_lo, exec_lo, s6
	s_cbranch_execz .LBB0_4
; %bb.118:                              ;   in Loop: Header=BB0_5 Depth=1
	v_mov_b32_e32 v28, s12
	v_mov_b32_e32 v30, s11
	;; [unrolled: 1-line block ×4, first 2 shown]
	s_clause 0x7
	buffer_load_dword v27, v28, s[0:3], 0 offen offset:128
	buffer_load_dword v28, v28, s[0:3], 0 offen offset:132
	;; [unrolled: 1-line block ×8, first 2 shown]
	s_waitcnt vmcnt(4)
	v_add_f64 v[29:30], v[27:28], v[29:30]
	v_add_f64 v[27:28], v[27:28], -v[9:10]
	s_waitcnt vmcnt(2)
	v_add_f64 v[29:30], v[29:30], v[37:38]
	s_waitcnt vmcnt(0)
	v_add_f64 v[37:38], v[40:41], -v[9:10]
	v_cmp_ngt_f64_e64 s8, 0, v[27:28]
	v_add_f64 v[29:30], v[29:30], v[40:41]
	v_cmp_ngt_f64_e32 vcc_lo, 0, v[37:38]
	v_fma_f64 v[29:30], 0x3fd00000, v[29:30], -v[9:10]
	v_cmp_ngt_f64_e64 s6, 0, v[29:30]
	s_or_b32 s6, vcc_lo, s6
	s_or_b32 s6, s6, s8
	s_and_b32 exec_lo, exec_lo, s6
	s_cbranch_execz .LBB0_4
; %bb.119:                              ;   in Loop: Header=BB0_5 Depth=1
	v_cmp_le_f64_e32 vcc_lo, 0, v[19:20]
	v_cmp_le_f64_e64 s6, 0, v[17:18]
	v_cmp_le_f64_e64 s8, 0, v[11:12]
	v_cmp_gt_f64_e64 s9, 1.0, v[19:20]
	v_cmp_gt_f64_e64 s10, 1.0, v[17:18]
	;; [unrolled: 1-line block ×3, first 2 shown]
	v_cmp_le_f64_e64 s12, 0, v[25:26]
	v_cmp_le_f64_e64 s13, 0, v[23:24]
	;; [unrolled: 1-line block ×3, first 2 shown]
	v_cmp_gt_f64_e64 s15, 1.0, v[25:26]
	v_cmp_gt_f64_e64 s16, 1.0, v[23:24]
	;; [unrolled: 1-line block ×3, first 2 shown]
	v_mov_b32_e32 v11, 8
	s_and_b32 s6, vcc_lo, s6
	s_and_b32 s6, s6, s8
	s_and_b32 s6, s9, s6
	;; [unrolled: 1-line block ×10, first 2 shown]
	s_and_saveexec_b32 s12, s6
	s_cbranch_execz .LBB0_3
; %bb.120:                              ;   in Loop: Header=BB0_5 Depth=1
	v_cmp_nge_f64_e32 vcc_lo, v[37:38], v[35:36]
	v_cmp_nge_f64_e64 s6, v[29:30], v[35:36]
	v_cmp_nge_f64_e64 s8, v[27:28], v[35:36]
	v_mov_b32_e32 v11, 4
	s_or_b32 s6, vcc_lo, s6
	s_or_b32 s6, s6, s8
	s_and_saveexec_b32 s13, s6
	s_cbranch_execz .LBB0_2
; %bb.121:                              ;   in Loop: Header=BB0_5 Depth=1
	v_cmp_le_f64_e32 vcc_lo, 0, v[37:38]
	v_cmp_le_f64_e64 s6, 0, v[29:30]
	v_cmp_le_f64_e64 s8, 0, v[27:28]
	v_cmp_lt_f64_e64 s9, v[37:38], v[35:36]
	v_cmp_lt_f64_e64 s10, v[29:30], v[35:36]
	;; [unrolled: 1-line block ×3, first 2 shown]
	s_and_b32 s6, vcc_lo, s6
	s_and_b32 s6, s6, s8
	s_and_b32 s6, s9, s6
	;; [unrolled: 1-line block ×3, first 2 shown]
	s_and_b32 vcc_lo, s6, s11
	v_cndmask_b32_e32 v11, 8, v39, vcc_lo
	s_branch .LBB0_2
.LBB0_122:                              ;   in Loop: Header=BB0_5 Depth=1
	s_mov_b32 s12, 5
	s_mov_b32 s10, 7
	s_mov_b32 s9, 3
	s_mov_b32 s8, s21
	s_mov_b32 s14, s26
	s_mov_b32 s15, s20
	s_mov_b32 s13, s22
	s_and_b32 vcc_lo, exec_lo, s6
	s_cbranch_vccnz .LBB0_113
	s_branch .LBB0_114
.LBB0_123:
	buffer_load_dword v11, off, s[0:3], 0 offset:8
	v_mul_u32_u24_e32 v0, 0xf8, v0
	s_mov_b32 s12, 0
	s_mov_b32 s7, exec_lo
	s_waitcnt vmcnt(0)
	v_and_b32_e32 v17, 1, v11
	v_bfe_u32 v19, v11, 1, 1
	v_and_b32_e32 v18, 2, v11
	v_bfe_u32 v21, v11, 2, 1
	v_and_b32_e32 v20, 4, v11
	v_cmp_eq_u32_e32 vcc_lo, 1, v17
	v_bfe_u32 v23, v11, 3, 1
	v_and_b32_e32 v22, 8, v11
	v_bfe_u32 v25, v11, 4, 1
	v_and_b32_e32 v24, 16, v11
	v_cndmask_b32_e64 v26, 0, 0x100, vcc_lo
	v_cmp_eq_u32_e32 vcc_lo, 0, v17
	v_and_b32_e32 v12, 32, v11
	v_cndmask_b32_e64 v27, 0, 1, vcc_lo
	v_cmp_eq_u32_e32 vcc_lo, 3, v17
	v_cndmask_b32_e64 v28, 0, 0x100, vcc_lo
	v_cmp_eq_u32_e32 vcc_lo, 2, v17
	v_cndmask_b32_e64 v29, 0, 1, vcc_lo
	v_cmp_eq_u32_e32 vcc_lo, 5, v17
	v_cndmask_b32_e64 v30, 0, 0x100, vcc_lo
	v_cmp_eq_u32_e32 vcc_lo, 4, v17
	v_cndmask_b32_e64 v37, 0, 1, vcc_lo
	v_cmp_eq_u32_e32 vcc_lo, 7, v17
	v_cndmask_b32_e64 v38, 0, 0x100, vcc_lo
	v_cmp_eq_u32_e32 vcc_lo, 6, v17
	v_cndmask_b32_e64 v39, 0, 1, vcc_lo
	v_cmp_eq_u32_e32 vcc_lo, 9, v17
	v_cndmask_b32_e64 v40, 0, 0x100, vcc_lo
	v_cmp_eq_u32_e32 vcc_lo, 8, v17
	v_cndmask_b32_e64 v41, 0, 1, vcc_lo
	v_cmp_eq_u32_e32 vcc_lo, 11, v17
	v_cndmask_b32_e64 v42, 0, 0x100, vcc_lo
	v_cmp_eq_u32_e32 vcc_lo, 10, v17
	v_cndmask_b32_e64 v43, 0, 1, vcc_lo
	v_cmp_eq_u32_e32 vcc_lo, 13, v17
	v_cndmask_b32_e64 v44, 0, 0x100, vcc_lo
	v_cmp_eq_u32_e32 vcc_lo, 12, v17
	v_cndmask_b32_e64 v45, 0, 1, vcc_lo
	v_cmp_eq_u32_e32 vcc_lo, 15, v17
	v_cndmask_b32_e64 v46, 0, 0x100, vcc_lo
	v_cmp_eq_u32_e32 vcc_lo, 14, v17
	v_cndmask_b32_e64 v47, 0, 1, vcc_lo
	v_cmp_eq_u32_e32 vcc_lo, 17, v17
	v_cndmask_b32_e64 v48, 0, 0x100, vcc_lo
	v_cmp_eq_u32_e32 vcc_lo, 16, v17
	v_cndmask_b32_e64 v49, 0, 1, vcc_lo
	v_cmp_eq_u32_e32 vcc_lo, 19, v17
	v_cndmask_b32_e64 v50, 0, 0x100, vcc_lo
	v_cmp_eq_u32_e32 vcc_lo, 18, v17
	v_cndmask_b32_e64 v51, 0, 1, vcc_lo
	v_cmp_eq_u32_e32 vcc_lo, 21, v17
	v_cndmask_b32_e64 v52, 0, 0x100, vcc_lo
	v_cmp_eq_u32_e32 vcc_lo, 20, v17
	v_cndmask_b32_e64 v53, 0, 1, vcc_lo
	v_cmp_eq_u32_e32 vcc_lo, 23, v17
	v_cndmask_b32_e64 v54, 0, 0x100, vcc_lo
	v_cmp_eq_u32_e32 vcc_lo, 22, v17
	v_add_nc_u32_e32 v17, v19, v17
	v_or_b32_e32 v19, v27, v26
	v_or_b32_sdwa v26, v29, v28 dst_sel:WORD_1 dst_unused:UNUSED_PAD src0_sel:DWORD src1_sel:DWORD
	v_or_b32_e32 v27, v37, v30
	v_cndmask_b32_e64 v55, 0, 1, vcc_lo
	v_or_b32_sdwa v28, v39, v38 dst_sel:WORD_1 dst_unused:UNUSED_PAD src0_sel:DWORD src1_sel:DWORD
	v_or_b32_e32 v29, v41, v40
	v_or_b32_sdwa v30, v43, v42 dst_sel:WORD_1 dst_unused:UNUSED_PAD src0_sel:DWORD src1_sel:DWORD
	v_or_b32_e32 v37, v45, v44
	;; [unrolled: 2-line block ×4, first 2 shown]
	v_or_b32_sdwa v42, v55, v54 dst_sel:WORD_1 dst_unused:UNUSED_PAD src0_sel:DWORD src1_sel:DWORD
	v_or_b32_sdwa v19, v19, v26 dst_sel:DWORD dst_unused:UNUSED_PAD src0_sel:WORD_0 src1_sel:DWORD
	v_or_b32_sdwa v26, v27, v28 dst_sel:DWORD dst_unused:UNUSED_PAD src0_sel:WORD_0 src1_sel:DWORD
	;; [unrolled: 1-line block ×3, first 2 shown]
	v_cmp_ne_u32_e32 vcc_lo, 0, v18
	v_or_b32_sdwa v28, v41, v42 dst_sel:DWORD dst_unused:UNUSED_PAD src0_sel:WORD_0 src1_sel:DWORD
	v_or_b32_sdwa v18, v37, v38 dst_sel:DWORD dst_unused:UNUSED_PAD src0_sel:WORD_0 src1_sel:DWORD
	;; [unrolled: 1-line block ×3, first 2 shown]
	v_add_nc_u32_e32 v21, v17, v21
	v_cndmask_b32_e32 v27, 0, v27, vcc_lo
	v_cndmask_b32_e32 v28, 0, v28, vcc_lo
	;; [unrolled: 1-line block ×6, first 2 shown]
	v_cmp_ne_u32_e32 vcc_lo, 0, v17
	v_lshrrev_b32_e32 v49, 8, v18
	v_lshrrev_b32_e32 v37, 8, v19
	v_lshrrev_b32_e32 v38, 24, v19
	v_lshrrev_b32_e32 v39, 16, v19
	v_cndmask_b32_e32 v30, 2, v19, vcc_lo
	v_cmp_ne_u32_e32 vcc_lo, 4, v17
	v_lshrrev_b32_e32 v41, 8, v26
	v_lshrrev_b32_e32 v42, 24, v26
	v_lshrrev_b32_e32 v43, 16, v26
	v_lshrrev_b32_e32 v45, 8, v29
	v_cndmask_b32_e32 v40, 2, v26, vcc_lo
	;; [unrolled: 6-line block ×4, first 2 shown]
	v_cmp_ne_u32_e32 vcc_lo, 16, v17
	v_lshrrev_b32_e32 v58, 24, v28
	v_lshrrev_b32_e32 v59, 16, v28
	v_add_nc_u32_e32 v23, v21, v23
	v_cndmask_b32_e32 v52, 2, v27, vcc_lo
	v_cmp_ne_u32_e32 vcc_lo, 20, v17
	v_add_nc_u32_e32 v25, v23, v25
	v_cndmask_b32_e32 v56, 2, v28, vcc_lo
	v_cmp_ne_u32_e32 vcc_lo, 1, v17
	v_cmp_ne_u32_e64 s6, 13, v25
	v_cndmask_b32_e32 v37, 2, v37, vcc_lo
	v_cmp_ne_u32_e32 vcc_lo, 3, v17
	v_lshlrev_b16 v37, 8, v37
	v_cndmask_b32_e32 v38, 2, v38, vcc_lo
	v_cmp_ne_u32_e32 vcc_lo, 2, v17
	v_or_b32_sdwa v30, v30, v37 dst_sel:DWORD dst_unused:UNUSED_PAD src0_sel:BYTE_0 src1_sel:DWORD
	v_lshlrev_b16 v38, 8, v38
	v_cndmask_b32_e32 v39, 2, v39, vcc_lo
	v_cmp_ne_u32_e32 vcc_lo, 5, v17
	v_or_b32_sdwa v37, v39, v38 dst_sel:WORD_1 dst_unused:UNUSED_PAD src0_sel:BYTE_0 src1_sel:DWORD
	v_cndmask_b32_e32 v41, 2, v41, vcc_lo
	v_cmp_ne_u32_e32 vcc_lo, 7, v17
	v_lshlrev_b16 v41, 8, v41
	v_cndmask_b32_e32 v42, 2, v42, vcc_lo
	v_cmp_ne_u32_e32 vcc_lo, 6, v17
	v_or_b32_sdwa v38, v40, v41 dst_sel:DWORD dst_unused:UNUSED_PAD src0_sel:BYTE_0 src1_sel:DWORD
	v_lshlrev_b16 v42, 8, v42
	v_cndmask_b32_e32 v43, 2, v43, vcc_lo
	v_cmp_ne_u32_e32 vcc_lo, 9, v17
	v_or_b32_sdwa v39, v43, v42 dst_sel:WORD_1 dst_unused:UNUSED_PAD src0_sel:BYTE_0 src1_sel:DWORD
	v_cndmask_b32_e32 v45, 2, v45, vcc_lo
	v_cmp_ne_u32_e32 vcc_lo, 11, v17
	v_lshlrev_b16 v45, 8, v45
	v_cndmask_b32_e32 v46, 2, v46, vcc_lo
	v_cmp_ne_u32_e32 vcc_lo, 10, v17
	v_or_b32_sdwa v40, v44, v45 dst_sel:DWORD dst_unused:UNUSED_PAD src0_sel:BYTE_0 src1_sel:DWORD
	v_lshlrev_b16 v46, 8, v46
	v_cndmask_b32_e32 v47, 2, v47, vcc_lo
	v_cmp_ne_u32_e32 vcc_lo, 13, v17
	v_or_b32_sdwa v41, v47, v46 dst_sel:WORD_1 dst_unused:UNUSED_PAD src0_sel:BYTE_0 src1_sel:DWORD
	v_cndmask_b32_e32 v49, 2, v49, vcc_lo
	v_cmp_ne_u32_e32 vcc_lo, 15, v17
	v_lshlrev_b16 v49, 8, v49
	v_cndmask_b32_e32 v50, 2, v50, vcc_lo
	v_cmp_ne_u32_e32 vcc_lo, 14, v17
	v_or_b32_sdwa v43, v48, v49 dst_sel:DWORD dst_unused:UNUSED_PAD src0_sel:BYTE_0 src1_sel:DWORD
	v_lshlrev_b16 v50, 8, v50
	v_cndmask_b32_e32 v51, 2, v51, vcc_lo
	v_cmp_ne_u32_e32 vcc_lo, 17, v17
	v_or_b32_sdwa v46, v51, v50 dst_sel:WORD_1 dst_unused:UNUSED_PAD src0_sel:BYTE_0 src1_sel:DWORD
	v_cndmask_b32_e32 v53, 2, v53, vcc_lo
	v_cmp_ne_u32_e32 vcc_lo, 19, v17
	v_lshlrev_b16 v53, 8, v53
	v_cndmask_b32_e32 v54, 2, v54, vcc_lo
	v_cmp_ne_u32_e32 vcc_lo, 18, v17
	v_or_b32_sdwa v44, v52, v53 dst_sel:DWORD dst_unused:UNUSED_PAD src0_sel:BYTE_0 src1_sel:DWORD
	v_lshlrev_b16 v54, 8, v54
	v_cndmask_b32_e32 v55, 2, v55, vcc_lo
	v_cmp_ne_u32_e32 vcc_lo, 21, v17
	v_or_b32_sdwa v45, v55, v54 dst_sel:WORD_1 dst_unused:UNUSED_PAD src0_sel:BYTE_0 src1_sel:DWORD
	v_cndmask_b32_e32 v57, 2, v57, vcc_lo
	v_cmp_ne_u32_e32 vcc_lo, 23, v17
	v_lshlrev_b16 v57, 8, v57
	v_cndmask_b32_e32 v58, 2, v58, vcc_lo
	v_cmp_ne_u32_e32 vcc_lo, 22, v17
	v_or_b32_sdwa v42, v56, v57 dst_sel:DWORD dst_unused:UNUSED_PAD src0_sel:BYTE_0 src1_sel:DWORD
	v_lshlrev_b16 v58, 8, v58
	v_cndmask_b32_e32 v17, 2, v59, vcc_lo
	v_cmp_eq_u32_e32 vcc_lo, 0, v20
	v_or_b32_sdwa v20, v30, v37 dst_sel:DWORD dst_unused:UNUSED_PAD src0_sel:WORD_0 src1_sel:DWORD
	v_or_b32_sdwa v30, v44, v45 dst_sel:DWORD dst_unused:UNUSED_PAD src0_sel:WORD_0 src1_sel:DWORD
	;; [unrolled: 1-line block ×3, first 2 shown]
	v_or_b32_sdwa v17, v17, v58 dst_sel:WORD_1 dst_unused:UNUSED_PAD src0_sel:BYTE_0 src1_sel:DWORD
	v_or_b32_sdwa v38, v43, v46 dst_sel:DWORD dst_unused:UNUSED_PAD src0_sel:WORD_0 src1_sel:DWORD
	v_or_b32_sdwa v39, v40, v41 dst_sel:DWORD dst_unused:UNUSED_PAD src0_sel:WORD_0 src1_sel:DWORD
	v_cndmask_b32_e32 v27, v30, v27, vcc_lo
	v_cndmask_b32_e32 v19, v20, v19, vcc_lo
	v_or_b32_sdwa v17, v42, v17 dst_sel:DWORD dst_unused:UNUSED_PAD src0_sel:WORD_0 src1_sel:DWORD
	v_cndmask_b32_e32 v18, v38, v18, vcc_lo
	v_cndmask_b32_e32 v20, v39, v29, vcc_lo
	;; [unrolled: 1-line block ×3, first 2 shown]
	v_lshrrev_b32_e32 v29, 8, v19
	v_cndmask_b32_e32 v17, v17, v28, vcc_lo
	v_cmp_ne_u32_e32 vcc_lo, 0, v21
	v_lshrrev_b32_e32 v30, 24, v19
	v_lshrrev_b32_e32 v37, 16, v19
	v_lshrrev_b32_e32 v39, 8, v26
	v_lshrrev_b32_e32 v40, 24, v26
	v_cndmask_b32_e32 v28, 3, v19, vcc_lo
	v_cmp_ne_u32_e32 vcc_lo, 4, v21
	v_lshrrev_b32_e32 v41, 16, v26
	v_lshrrev_b32_e32 v43, 8, v20
	v_lshrrev_b32_e32 v44, 24, v20
	;; [unrolled: 6-line block ×4, first 2 shown]
	v_lshrrev_b32_e32 v56, 24, v17
	v_cndmask_b32_e32 v46, 3, v18, vcc_lo
	v_cmp_ne_u32_e32 vcc_lo, 16, v21
	v_lshrrev_b32_e32 v57, 16, v17
	v_cndmask_b32_e32 v50, 3, v27, vcc_lo
	v_cmp_ne_u32_e32 vcc_lo, 20, v21
	v_cndmask_b32_e32 v54, 3, v17, vcc_lo
	v_cmp_ne_u32_e32 vcc_lo, 1, v21
	;; [unrolled: 2-line block ×3, first 2 shown]
	v_lshlrev_b16 v29, 8, v29
	v_cndmask_b32_e32 v30, 3, v30, vcc_lo
	v_cmp_ne_u32_e32 vcc_lo, 2, v21
	v_or_b32_sdwa v28, v28, v29 dst_sel:DWORD dst_unused:UNUSED_PAD src0_sel:BYTE_0 src1_sel:DWORD
	v_lshlrev_b16 v30, 8, v30
	v_cndmask_b32_e32 v37, 3, v37, vcc_lo
	v_cmp_ne_u32_e32 vcc_lo, 5, v21
	v_or_b32_sdwa v29, v37, v30 dst_sel:WORD_1 dst_unused:UNUSED_PAD src0_sel:BYTE_0 src1_sel:DWORD
	v_cndmask_b32_e32 v39, 3, v39, vcc_lo
	v_cmp_ne_u32_e32 vcc_lo, 7, v21
	v_lshlrev_b16 v39, 8, v39
	v_cndmask_b32_e32 v40, 3, v40, vcc_lo
	v_cmp_ne_u32_e32 vcc_lo, 6, v21
	v_or_b32_sdwa v30, v38, v39 dst_sel:DWORD dst_unused:UNUSED_PAD src0_sel:BYTE_0 src1_sel:DWORD
	v_lshlrev_b16 v40, 8, v40
	v_cndmask_b32_e32 v41, 3, v41, vcc_lo
	v_cmp_ne_u32_e32 vcc_lo, 9, v21
	v_or_b32_sdwa v37, v41, v40 dst_sel:WORD_1 dst_unused:UNUSED_PAD src0_sel:BYTE_0 src1_sel:DWORD
	v_cndmask_b32_e32 v43, 3, v43, vcc_lo
	v_cmp_ne_u32_e32 vcc_lo, 11, v21
	;; [unrolled: 10-line block ×5, first 2 shown]
	v_lshlrev_b16 v55, 8, v55
	v_cndmask_b32_e32 v56, 3, v56, vcc_lo
	v_cmp_ne_u32_e32 vcc_lo, 22, v21
	v_or_b32_sdwa v40, v54, v55 dst_sel:DWORD dst_unused:UNUSED_PAD src0_sel:BYTE_0 src1_sel:DWORD
	v_lshlrev_b16 v56, 8, v56
	v_cndmask_b32_e32 v21, 3, v57, vcc_lo
	v_cmp_eq_u32_e32 vcc_lo, 0, v22
	v_or_b32_sdwa v22, v28, v29 dst_sel:DWORD dst_unused:UNUSED_PAD src0_sel:WORD_0 src1_sel:DWORD
	v_or_b32_sdwa v28, v42, v43 dst_sel:DWORD dst_unused:UNUSED_PAD src0_sel:WORD_0 src1_sel:DWORD
	;; [unrolled: 1-line block ×3, first 2 shown]
	v_or_b32_sdwa v21, v21, v56 dst_sel:WORD_1 dst_unused:UNUSED_PAD src0_sel:BYTE_0 src1_sel:DWORD
	v_or_b32_sdwa v30, v41, v44 dst_sel:DWORD dst_unused:UNUSED_PAD src0_sel:WORD_0 src1_sel:DWORD
	v_or_b32_sdwa v37, v38, v39 dst_sel:DWORD dst_unused:UNUSED_PAD src0_sel:WORD_0 src1_sel:DWORD
	v_cndmask_b32_e32 v19, v22, v19, vcc_lo
	v_cndmask_b32_e32 v22, v29, v26, vcc_lo
	v_or_b32_sdwa v21, v40, v21 dst_sel:DWORD dst_unused:UNUSED_PAD src0_sel:WORD_0 src1_sel:DWORD
	v_cndmask_b32_e32 v18, v30, v18, vcc_lo
	v_cndmask_b32_e32 v20, v37, v20, vcc_lo
	v_lshrrev_b32_e32 v29, 16, v19
	v_lshrrev_b32_e32 v37, 8, v22
	v_cndmask_b32_e32 v17, v21, v17, vcc_lo
	v_cndmask_b32_e32 v21, v28, v27, vcc_lo
	v_cmp_ne_u32_e32 vcc_lo, 0, v23
	v_lshrrev_b32_e32 v27, 8, v19
	v_lshrrev_b32_e32 v28, 24, v19
	v_lshrrev_b32_e32 v38, 24, v22
	v_lshrrev_b32_e32 v39, 16, v22
	v_cndmask_b32_e32 v26, 4, v19, vcc_lo
	v_cmp_ne_u32_e32 vcc_lo, 4, v23
	v_lshrrev_b32_e32 v41, 8, v20
	v_lshrrev_b32_e32 v42, 24, v20
	v_lshrrev_b32_e32 v43, 16, v20
	v_lshrrev_b32_e32 v45, 8, v18
	;; [unrolled: 6-line block ×4, first 2 shown]
	v_cndmask_b32_e32 v44, 4, v18, vcc_lo
	v_cmp_ne_u32_e32 vcc_lo, 16, v23
	v_cndmask_b32_e32 v48, 4, v21, vcc_lo
	v_cmp_ne_u32_e32 vcc_lo, 20, v23
	;; [unrolled: 2-line block ×4, first 2 shown]
	v_lshlrev_b16 v27, 8, v27
	v_cndmask_b32_e32 v28, 4, v28, vcc_lo
	v_cmp_ne_u32_e32 vcc_lo, 2, v23
	v_or_b32_sdwa v26, v26, v27 dst_sel:DWORD dst_unused:UNUSED_PAD src0_sel:BYTE_0 src1_sel:DWORD
	v_lshlrev_b16 v28, 8, v28
	v_cndmask_b32_e32 v29, 4, v29, vcc_lo
	v_cmp_ne_u32_e32 vcc_lo, 5, v23
	v_or_b32_sdwa v27, v29, v28 dst_sel:WORD_1 dst_unused:UNUSED_PAD src0_sel:BYTE_0 src1_sel:DWORD
	v_cndmask_b32_e32 v37, 4, v37, vcc_lo
	v_cmp_ne_u32_e32 vcc_lo, 7, v23
	v_lshlrev_b16 v37, 8, v37
	v_cndmask_b32_e32 v38, 4, v38, vcc_lo
	v_cmp_ne_u32_e32 vcc_lo, 6, v23
	v_or_b32_sdwa v28, v30, v37 dst_sel:DWORD dst_unused:UNUSED_PAD src0_sel:BYTE_0 src1_sel:DWORD
	v_lshlrev_b16 v38, 8, v38
	v_cndmask_b32_e32 v39, 4, v39, vcc_lo
	v_cmp_ne_u32_e32 vcc_lo, 9, v23
	v_or_b32_sdwa v29, v39, v38 dst_sel:WORD_1 dst_unused:UNUSED_PAD src0_sel:BYTE_0 src1_sel:DWORD
	v_cndmask_b32_e32 v41, 4, v41, vcc_lo
	v_cmp_ne_u32_e32 vcc_lo, 11, v23
	;; [unrolled: 10-line block ×5, first 2 shown]
	v_lshlrev_b16 v53, 8, v53
	v_cndmask_b32_e32 v54, 4, v54, vcc_lo
	v_cmp_ne_u32_e32 vcc_lo, 22, v23
	v_or_b32_sdwa v38, v52, v53 dst_sel:DWORD dst_unused:UNUSED_PAD src0_sel:BYTE_0 src1_sel:DWORD
	v_lshlrev_b16 v54, 8, v54
	v_cndmask_b32_e32 v23, 4, v55, vcc_lo
	v_cmp_eq_u32_e32 vcc_lo, 0, v24
	v_or_b32_sdwa v24, v26, v27 dst_sel:DWORD dst_unused:UNUSED_PAD src0_sel:WORD_0 src1_sel:DWORD
	v_or_b32_sdwa v26, v40, v41 dst_sel:DWORD dst_unused:UNUSED_PAD src0_sel:WORD_0 src1_sel:DWORD
	;; [unrolled: 1-line block ×3, first 2 shown]
	v_or_b32_sdwa v23, v23, v54 dst_sel:WORD_1 dst_unused:UNUSED_PAD src0_sel:BYTE_0 src1_sel:DWORD
	v_or_b32_sdwa v28, v39, v42 dst_sel:DWORD dst_unused:UNUSED_PAD src0_sel:WORD_0 src1_sel:DWORD
	v_or_b32_sdwa v29, v30, v37 dst_sel:DWORD dst_unused:UNUSED_PAD src0_sel:WORD_0 src1_sel:DWORD
	v_cndmask_b32_e32 v21, v26, v21, vcc_lo
	v_cndmask_b32_e32 v19, v24, v19, vcc_lo
	v_or_b32_sdwa v23, v38, v23 dst_sel:DWORD dst_unused:UNUSED_PAD src0_sel:WORD_0 src1_sel:DWORD
	v_cndmask_b32_e32 v18, v28, v18, vcc_lo
	v_cndmask_b32_e32 v20, v29, v20, vcc_lo
	;; [unrolled: 1-line block ×3, first 2 shown]
	v_lshrrev_b32_e32 v24, 8, v19
	v_cndmask_b32_e32 v17, v23, v17, vcc_lo
	v_cmp_ne_u32_e32 vcc_lo, 0, v25
	v_lshrrev_b32_e32 v26, 24, v19
	v_lshrrev_b32_e32 v27, 16, v19
	v_lshrrev_b32_e32 v29, 8, v22
	v_lshrrev_b32_e32 v30, 24, v22
	v_cndmask_b32_e32 v23, 5, v19, vcc_lo
	v_cmp_ne_u32_e32 vcc_lo, 4, v25
	v_lshrrev_b32_e32 v37, 16, v22
	v_lshrrev_b32_e32 v39, 8, v20
	v_lshrrev_b32_e32 v40, 24, v20
	;; [unrolled: 6-line block ×3, first 2 shown]
	v_cndmask_b32_e32 v38, 5, v20, vcc_lo
	v_cmp_ne_u32_e32 vcc_lo, 20, v25
	v_cndmask_b32_e32 v42, 5, v17, vcc_lo
	v_cmp_ne_u32_e32 vcc_lo, 1, v25
	v_cndmask_b32_e32 v24, 5, v24, vcc_lo
	v_cmp_ne_u32_e32 vcc_lo, 3, v25
	v_lshlrev_b16 v24, 8, v24
	v_cndmask_b32_e32 v26, 5, v26, vcc_lo
	v_cmp_ne_u32_e32 vcc_lo, 2, v25
	v_or_b32_sdwa v23, v23, v24 dst_sel:DWORD dst_unused:UNUSED_PAD src0_sel:BYTE_0 src1_sel:DWORD
	v_lshlrev_b16 v26, 8, v26
	v_cndmask_b32_e32 v27, 5, v27, vcc_lo
	v_cmp_ne_u32_e32 vcc_lo, 5, v25
	v_or_b32_sdwa v26, v27, v26 dst_sel:WORD_1 dst_unused:UNUSED_PAD src0_sel:BYTE_0 src1_sel:DWORD
	v_cndmask_b32_e32 v29, 5, v29, vcc_lo
	v_cmp_ne_u32_e32 vcc_lo, 7, v25
	v_or_b32_sdwa v23, v23, v26 dst_sel:DWORD dst_unused:UNUSED_PAD src0_sel:WORD_0 src1_sel:DWORD
	v_lshlrev_b16 v29, 8, v29
	v_cndmask_b32_e32 v30, 5, v30, vcc_lo
	v_cmp_ne_u32_e32 vcc_lo, 6, v25
	v_or_b32_sdwa v27, v28, v29 dst_sel:DWORD dst_unused:UNUSED_PAD src0_sel:BYTE_0 src1_sel:DWORD
	v_lshlrev_b16 v30, 8, v30
	v_cndmask_b32_e32 v37, 5, v37, vcc_lo
	v_cmp_ne_u32_e32 vcc_lo, 9, v25
	v_or_b32_sdwa v28, v37, v30 dst_sel:WORD_1 dst_unused:UNUSED_PAD src0_sel:BYTE_0 src1_sel:DWORD
	v_cndmask_b32_e32 v39, 5, v39, vcc_lo
	v_cmp_ne_u32_e32 vcc_lo, 11, v25
	v_cndmask_b32_e64 v37, 5, v41, s6
	v_cmp_ne_u32_e64 s6, 15, v25
	v_lshrrev_b32_e32 v41, 8, v21
	v_lshlrev_b16 v39, 8, v39
	v_cndmask_b32_e32 v40, 5, v40, vcc_lo
	v_cmp_ne_u32_e32 vcc_lo, 21, v25
	v_lshrrev_b32_e32 v30, 16, v20
	v_lshlrev_b16 v37, 8, v37
	v_or_b32_sdwa v29, v38, v39 dst_sel:DWORD dst_unused:UNUSED_PAD src0_sel:BYTE_0 src1_sel:DWORD
	v_lshrrev_b32_e32 v39, 16, v18
	v_cndmask_b32_e32 v43, 5, v43, vcc_lo
	v_cmp_ne_u32_e32 vcc_lo, 23, v25
	v_lshlrev_b16 v40, 8, v40
	v_or_b32_sdwa v26, v27, v28 dst_sel:DWORD dst_unused:UNUSED_PAD src0_sel:WORD_0 src1_sel:DWORD
	v_lshlrev_b16 v43, 8, v43
	v_cndmask_b32_e32 v44, 5, v44, vcc_lo
	v_cmp_ne_u32_e32 vcc_lo, 22, v25
	v_or_b32_sdwa v24, v42, v43 dst_sel:DWORD dst_unused:UNUSED_PAD src0_sel:BYTE_0 src1_sel:DWORD
	v_lshlrev_b16 v44, 8, v44
	v_cndmask_b32_e32 v45, 5, v45, vcc_lo
	v_cmp_eq_u32_e32 vcc_lo, 0, v12
	v_lshrrev_b32_e32 v12, 24, v18
	v_lshrrev_b32_e32 v43, 16, v21
	v_or_b32_sdwa v42, v45, v44 dst_sel:WORD_1 dst_unused:UNUSED_PAD src0_sel:BYTE_0 src1_sel:DWORD
	v_cndmask_b32_e32 v22, v26, v22, vcc_lo
	v_cndmask_b32_e64 v12, 5, v12, s6
	v_cmp_ne_u32_e64 s6, 12, v25
	v_or_b32_sdwa v24, v24, v42 dst_sel:DWORD dst_unused:UNUSED_PAD src0_sel:WORD_0 src1_sel:DWORD
	v_lshrrev_b32_e32 v42, 24, v21
	v_lshlrev_b16 v12, 8, v12
	v_cndmask_b32_e64 v38, 5, v18, s6
	v_cmp_ne_u32_e64 s6, 14, v25
	v_cndmask_b32_e32 v17, v24, v17, vcc_lo
	v_or_b32_sdwa v37, v38, v37 dst_sel:DWORD dst_unused:UNUSED_PAD src0_sel:BYTE_0 src1_sel:DWORD
	v_cndmask_b32_e64 v39, 5, v39, s6
	v_cmp_ne_u32_e64 s6, 17, v25
	v_lshrrev_b32_e32 v26, 8, v17
	v_or_b32_sdwa v12, v39, v12 dst_sel:WORD_1 dst_unused:UNUSED_PAD src0_sel:BYTE_0 src1_sel:DWORD
	v_cndmask_b32_e64 v41, 5, v41, s6
	v_cmp_ne_u32_e64 s6, 19, v25
	v_or_b32_sdwa v12, v37, v12 dst_sel:DWORD dst_unused:UNUSED_PAD src0_sel:WORD_0 src1_sel:DWORD
	v_lshlrev_b16 v41, 8, v41
	v_cndmask_b32_e64 v42, 5, v42, s6
	v_cmp_ne_u32_e64 s6, 16, v25
	v_cndmask_b32_e32 v12, v12, v18, vcc_lo
	v_cndmask_b32_e32 v18, v23, v19, vcc_lo
	v_lshlrev_b16 v42, 8, v42
	v_cndmask_b32_e64 v44, 5, v21, s6
	v_cmp_ne_u32_e64 s6, 18, v25
	v_and_b32_e32 v23, 64, v11
	v_lshrrev_b32_e32 v24, 8, v18
	v_lshrrev_b32_e32 v37, 16, v18
	v_or_b32_sdwa v38, v44, v41 dst_sel:DWORD dst_unused:UNUSED_PAD src0_sel:BYTE_0 src1_sel:DWORD
	v_cndmask_b32_e64 v43, 5, v43, s6
	v_cmp_ne_u32_e64 s6, 10, v25
	v_or_b32_sdwa v41, v43, v42 dst_sel:WORD_1 dst_unused:UNUSED_PAD src0_sel:BYTE_0 src1_sel:DWORD
	v_cndmask_b32_e64 v30, 5, v30, s6
	v_or_b32_sdwa v27, v38, v41 dst_sel:DWORD dst_unused:UNUSED_PAD src0_sel:WORD_0 src1_sel:DWORD
	v_or_b32_sdwa v30, v30, v40 dst_sel:WORD_1 dst_unused:UNUSED_PAD src0_sel:BYTE_0 src1_sel:DWORD
	v_lshrrev_b32_e32 v40, 16, v12
	v_cndmask_b32_e32 v21, v27, v21, vcc_lo
	v_or_b32_sdwa v28, v29, v30 dst_sel:DWORD dst_unused:UNUSED_PAD src0_sel:WORD_0 src1_sel:DWORD
	v_bfe_u32 v29, v11, 5, 1
	v_lshrrev_b32_e32 v27, 24, v17
	v_lshrrev_b32_e32 v41, 8, v21
	v_cndmask_b32_e32 v20, v28, v20, vcc_lo
	v_add_nc_u32_e32 v19, v25, v29
	v_lshrrev_b32_e32 v29, 16, v17
	v_lshrrev_b32_e32 v28, 24, v18
	;; [unrolled: 1-line block ×4, first 2 shown]
	v_cmp_ne_u32_e32 vcc_lo, 0, v19
	v_cmp_ne_u32_e64 s6, 5, v19
	v_cndmask_b32_e32 v25, 6, v18, vcc_lo
	v_cmp_ne_u32_e32 vcc_lo, 1, v19
	v_cndmask_b32_e32 v24, 6, v24, vcc_lo
	v_cmp_ne_u32_e32 vcc_lo, 21, v19
	v_lshlrev_b16 v24, 8, v24
	v_cndmask_b32_e32 v26, 6, v26, vcc_lo
	v_cmp_ne_u32_e32 vcc_lo, 23, v19
	v_or_b32_sdwa v24, v25, v24 dst_sel:DWORD dst_unused:UNUSED_PAD src0_sel:BYTE_0 src1_sel:DWORD
	v_lshlrev_b16 v26, 8, v26
	v_cndmask_b32_e32 v27, 6, v27, vcc_lo
	v_cmp_ne_u32_e32 vcc_lo, 20, v19
	v_lshrrev_b32_e32 v25, 24, v22
	v_lshlrev_b16 v27, 8, v27
	v_cndmask_b32_e32 v30, 6, v17, vcc_lo
	v_cmp_ne_u32_e32 vcc_lo, 22, v19
	v_or_b32_sdwa v26, v30, v26 dst_sel:DWORD dst_unused:UNUSED_PAD src0_sel:BYTE_0 src1_sel:DWORD
	v_cndmask_b32_e32 v29, 6, v29, vcc_lo
	v_cmp_ne_u32_e32 vcc_lo, 3, v19
	v_lshrrev_b32_e32 v30, 16, v22
	v_or_b32_sdwa v27, v29, v27 dst_sel:WORD_1 dst_unused:UNUSED_PAD src0_sel:BYTE_0 src1_sel:DWORD
	v_cndmask_b32_e32 v28, 6, v28, vcc_lo
	v_cmp_ne_u32_e32 vcc_lo, 2, v19
	v_or_b32_sdwa v26, v26, v27 dst_sel:DWORD dst_unused:UNUSED_PAD src0_sel:WORD_0 src1_sel:DWORD
	v_lshlrev_b16 v28, 8, v28
	v_cndmask_b32_e32 v29, 6, v37, vcc_lo
	v_cmp_eq_u32_e32 vcc_lo, 0, v23
	v_lshrrev_b32_e32 v23, 8, v22
	v_lshrrev_b32_e32 v37, 24, v20
	v_or_b32_sdwa v27, v29, v28 dst_sel:WORD_1 dst_unused:UNUSED_PAD src0_sel:BYTE_0 src1_sel:DWORD
	v_lshrrev_b32_e32 v29, 8, v20
	v_cndmask_b32_e64 v23, 6, v23, s6
	v_cmp_ne_u32_e64 s6, 7, v19
	v_cndmask_b32_e32 v17, v26, v17, vcc_lo
	v_or_b32_sdwa v24, v24, v27 dst_sel:DWORD dst_unused:UNUSED_PAD src0_sel:WORD_0 src1_sel:DWORD
	v_lshlrev_b16 v23, 8, v23
	v_cndmask_b32_e64 v25, 6, v25, s6
	v_cmp_ne_u32_e64 s6, 4, v19
	v_cndmask_b32_e32 v18, v24, v18, vcc_lo
	v_lshrrev_b32_e32 v26, 8, v17
	v_lshlrev_b16 v25, 8, v25
	v_cndmask_b32_e64 v28, 6, v22, s6
	v_cmp_ne_u32_e64 s6, 9, v19
	v_lshrrev_b32_e32 v24, 8, v18
	v_or_b32_sdwa v23, v28, v23 dst_sel:DWORD dst_unused:UNUSED_PAD src0_sel:BYTE_0 src1_sel:DWORD
	v_cndmask_b32_e64 v29, 6, v29, s6
	v_cmp_ne_u32_e64 s6, 6, v19
	v_lshlrev_b16 v29, 8, v29
	v_cndmask_b32_e64 v30, 6, v30, s6
	v_cmp_ne_u32_e64 s6, 8, v19
	v_or_b32_sdwa v25, v30, v25 dst_sel:WORD_1 dst_unused:UNUSED_PAD src0_sel:BYTE_0 src1_sel:DWORD
	v_cndmask_b32_e64 v38, 6, v20, s6
	v_cmp_ne_u32_e64 s6, 11, v19
	v_or_b32_sdwa v23, v23, v25 dst_sel:DWORD dst_unused:UNUSED_PAD src0_sel:WORD_0 src1_sel:DWORD
	v_or_b32_sdwa v28, v38, v29 dst_sel:DWORD dst_unused:UNUSED_PAD src0_sel:BYTE_0 src1_sel:DWORD
	v_cndmask_b32_e64 v37, 6, v37, s6
	v_lshrrev_b32_e32 v29, 8, v12
	v_cmp_ne_u32_e64 s6, 13, v19
	v_lshrrev_b32_e32 v38, 16, v20
	v_cndmask_b32_e32 v22, v23, v22, vcc_lo
	v_lshlrev_b16 v30, 8, v37
	v_lshrrev_b32_e32 v37, 24, v12
	v_cndmask_b32_e64 v29, 6, v29, s6
	v_cmp_ne_u32_e64 s6, 15, v19
	v_and_b32_e32 v23, 0x80, v11
	v_lshlrev_b16 v29, 8, v29
	v_cndmask_b32_e64 v37, 6, v37, s6
	v_cmp_ne_u32_e64 s6, 12, v19
	v_lshlrev_b16 v37, 8, v37
	v_cndmask_b32_e64 v39, 6, v12, s6
	v_cmp_ne_u32_e64 s6, 14, v19
	v_or_b32_sdwa v29, v39, v29 dst_sel:DWORD dst_unused:UNUSED_PAD src0_sel:BYTE_0 src1_sel:DWORD
	v_cndmask_b32_e64 v40, 6, v40, s6
	v_cmp_ne_u32_e64 s6, 17, v19
	v_or_b32_sdwa v37, v40, v37 dst_sel:WORD_1 dst_unused:UNUSED_PAD src0_sel:BYTE_0 src1_sel:DWORD
	v_cndmask_b32_e64 v41, 6, v41, s6
	v_cmp_ne_u32_e64 s6, 19, v19
	v_or_b32_sdwa v27, v29, v37 dst_sel:DWORD dst_unused:UNUSED_PAD src0_sel:WORD_0 src1_sel:DWORD
	v_lshlrev_b16 v41, 8, v41
	v_cndmask_b32_e64 v42, 6, v42, s6
	v_cmp_ne_u32_e64 s6, 16, v19
	v_bfe_u32 v29, v11, 6, 1
	v_cndmask_b32_e32 v12, v27, v12, vcc_lo
	v_lshrrev_b32_e32 v27, 24, v17
	v_lshlrev_b16 v42, 8, v42
	v_cndmask_b32_e64 v44, 6, v21, s6
	v_cmp_ne_u32_e64 s6, 18, v19
	v_lshrrev_b32_e32 v37, 16, v18
	v_lshrrev_b32_e32 v40, 16, v12
	v_or_b32_sdwa v39, v44, v41 dst_sel:DWORD dst_unused:UNUSED_PAD src0_sel:BYTE_0 src1_sel:DWORD
	v_cndmask_b32_e64 v43, 6, v43, s6
	v_cmp_ne_u32_e64 s6, 10, v19
	v_add_nc_u32_e32 v19, v19, v29
	v_lshrrev_b32_e32 v29, 16, v17
	v_or_b32_sdwa v41, v43, v42 dst_sel:WORD_1 dst_unused:UNUSED_PAD src0_sel:BYTE_0 src1_sel:DWORD
	v_cndmask_b32_e64 v38, 6, v38, s6
	v_cmp_ne_u32_e64 s6, 5, v19
	v_or_b32_sdwa v25, v39, v41 dst_sel:DWORD dst_unused:UNUSED_PAD src0_sel:WORD_0 src1_sel:DWORD
	v_or_b32_sdwa v30, v38, v30 dst_sel:WORD_1 dst_unused:UNUSED_PAD src0_sel:BYTE_0 src1_sel:DWORD
	v_cndmask_b32_e32 v21, v25, v21, vcc_lo
	v_or_b32_sdwa v28, v28, v30 dst_sel:DWORD dst_unused:UNUSED_PAD src0_sel:WORD_0 src1_sel:DWORD
	v_lshrrev_b32_e32 v41, 8, v21
	v_cndmask_b32_e32 v20, v28, v20, vcc_lo
	v_cmp_ne_u32_e32 vcc_lo, 0, v19
	v_lshrrev_b32_e32 v28, 24, v18
	v_lshrrev_b32_e32 v42, 24, v21
	;; [unrolled: 1-line block ×3, first 2 shown]
	v_cndmask_b32_e32 v25, 7, v18, vcc_lo
	v_cmp_ne_u32_e32 vcc_lo, 1, v19
	v_cndmask_b32_e32 v24, 7, v24, vcc_lo
	v_cmp_ne_u32_e32 vcc_lo, 21, v19
	v_lshlrev_b16 v24, 8, v24
	v_cndmask_b32_e32 v26, 7, v26, vcc_lo
	v_cmp_ne_u32_e32 vcc_lo, 23, v19
	v_or_b32_sdwa v24, v25, v24 dst_sel:DWORD dst_unused:UNUSED_PAD src0_sel:BYTE_0 src1_sel:DWORD
	v_lshlrev_b16 v26, 8, v26
	v_cndmask_b32_e32 v27, 7, v27, vcc_lo
	v_cmp_ne_u32_e32 vcc_lo, 20, v19
	v_lshrrev_b32_e32 v25, 24, v22
	v_lshlrev_b16 v27, 8, v27
	v_cndmask_b32_e32 v30, 7, v17, vcc_lo
	v_cmp_ne_u32_e32 vcc_lo, 22, v19
	v_or_b32_sdwa v26, v30, v26 dst_sel:DWORD dst_unused:UNUSED_PAD src0_sel:BYTE_0 src1_sel:DWORD
	v_cndmask_b32_e32 v29, 7, v29, vcc_lo
	v_cmp_ne_u32_e32 vcc_lo, 3, v19
	v_lshrrev_b32_e32 v30, 16, v22
	v_or_b32_sdwa v27, v29, v27 dst_sel:WORD_1 dst_unused:UNUSED_PAD src0_sel:BYTE_0 src1_sel:DWORD
	v_cndmask_b32_e32 v28, 7, v28, vcc_lo
	v_cmp_ne_u32_e32 vcc_lo, 2, v19
	v_or_b32_sdwa v26, v26, v27 dst_sel:DWORD dst_unused:UNUSED_PAD src0_sel:WORD_0 src1_sel:DWORD
	v_lshlrev_b16 v28, 8, v28
	v_cndmask_b32_e32 v29, 7, v37, vcc_lo
	v_cmp_eq_u32_e32 vcc_lo, 0, v23
	v_lshrrev_b32_e32 v23, 8, v22
	v_lshrrev_b32_e32 v37, 24, v20
	v_or_b32_sdwa v27, v29, v28 dst_sel:WORD_1 dst_unused:UNUSED_PAD src0_sel:BYTE_0 src1_sel:DWORD
	v_lshrrev_b32_e32 v29, 8, v20
	v_cndmask_b32_e64 v23, 7, v23, s6
	v_cmp_ne_u32_e64 s6, 7, v19
	v_cndmask_b32_e32 v17, v26, v17, vcc_lo
	v_or_b32_sdwa v24, v24, v27 dst_sel:DWORD dst_unused:UNUSED_PAD src0_sel:WORD_0 src1_sel:DWORD
	v_lshlrev_b16 v23, 8, v23
	v_cndmask_b32_e64 v25, 7, v25, s6
	v_cmp_ne_u32_e64 s6, 4, v19
	v_cndmask_b32_e32 v18, v24, v18, vcc_lo
	v_lshrrev_b32_e32 v26, 8, v17
	v_lshlrev_b16 v25, 8, v25
	v_cndmask_b32_e64 v28, 7, v22, s6
	v_cmp_ne_u32_e64 s6, 9, v19
	v_lshrrev_b32_e32 v24, 8, v18
	v_or_b32_sdwa v23, v28, v23 dst_sel:DWORD dst_unused:UNUSED_PAD src0_sel:BYTE_0 src1_sel:DWORD
	v_cndmask_b32_e64 v29, 7, v29, s6
	v_cmp_ne_u32_e64 s6, 6, v19
	v_lshlrev_b16 v29, 8, v29
	v_cndmask_b32_e64 v30, 7, v30, s6
	v_cmp_ne_u32_e64 s6, 8, v19
	v_or_b32_sdwa v25, v30, v25 dst_sel:WORD_1 dst_unused:UNUSED_PAD src0_sel:BYTE_0 src1_sel:DWORD
	v_cndmask_b32_e64 v38, 7, v20, s6
	v_cmp_ne_u32_e64 s6, 11, v19
	v_or_b32_sdwa v23, v23, v25 dst_sel:DWORD dst_unused:UNUSED_PAD src0_sel:WORD_0 src1_sel:DWORD
	v_or_b32_sdwa v28, v38, v29 dst_sel:DWORD dst_unused:UNUSED_PAD src0_sel:BYTE_0 src1_sel:DWORD
	v_cndmask_b32_e64 v37, 7, v37, s6
	v_lshrrev_b32_e32 v29, 8, v12
	v_cmp_ne_u32_e64 s6, 13, v19
	v_lshrrev_b32_e32 v38, 16, v20
	v_cndmask_b32_e32 v22, v23, v22, vcc_lo
	v_lshlrev_b16 v30, 8, v37
	v_lshrrev_b32_e32 v37, 24, v12
	v_cndmask_b32_e64 v29, 7, v29, s6
	v_cmp_ne_u32_e64 s6, 15, v19
	v_and_b32_e32 v23, 0x100, v11
	v_lshlrev_b16 v29, 8, v29
	v_cndmask_b32_e64 v37, 7, v37, s6
	v_cmp_ne_u32_e64 s6, 12, v19
	v_lshlrev_b16 v37, 8, v37
	v_cndmask_b32_e64 v39, 7, v12, s6
	v_cmp_ne_u32_e64 s6, 14, v19
	v_or_b32_sdwa v29, v39, v29 dst_sel:DWORD dst_unused:UNUSED_PAD src0_sel:BYTE_0 src1_sel:DWORD
	v_cndmask_b32_e64 v40, 7, v40, s6
	v_cmp_ne_u32_e64 s6, 17, v19
	v_or_b32_sdwa v37, v40, v37 dst_sel:WORD_1 dst_unused:UNUSED_PAD src0_sel:BYTE_0 src1_sel:DWORD
	v_cndmask_b32_e64 v41, 7, v41, s6
	v_cmp_ne_u32_e64 s6, 19, v19
	v_or_b32_sdwa v27, v29, v37 dst_sel:DWORD dst_unused:UNUSED_PAD src0_sel:WORD_0 src1_sel:DWORD
	v_lshlrev_b16 v41, 8, v41
	v_cndmask_b32_e64 v42, 7, v42, s6
	v_cmp_ne_u32_e64 s6, 16, v19
	v_bfe_u32 v29, v11, 7, 1
	v_cndmask_b32_e32 v12, v27, v12, vcc_lo
	v_lshrrev_b32_e32 v27, 24, v17
	v_lshlrev_b16 v42, 8, v42
	v_cndmask_b32_e64 v44, 7, v21, s6
	v_cmp_ne_u32_e64 s6, 18, v19
	v_lshrrev_b32_e32 v37, 16, v18
	v_lshrrev_b32_e32 v40, 16, v12
	v_or_b32_sdwa v39, v44, v41 dst_sel:DWORD dst_unused:UNUSED_PAD src0_sel:BYTE_0 src1_sel:DWORD
	v_cndmask_b32_e64 v43, 7, v43, s6
	v_cmp_ne_u32_e64 s6, 10, v19
	v_add_nc_u32_e32 v19, v19, v29
	v_lshrrev_b32_e32 v29, 16, v17
	v_or_b32_sdwa v41, v43, v42 dst_sel:WORD_1 dst_unused:UNUSED_PAD src0_sel:BYTE_0 src1_sel:DWORD
	v_cndmask_b32_e64 v38, 7, v38, s6
	v_cmp_ne_u32_e64 s6, 5, v19
	v_or_b32_sdwa v25, v39, v41 dst_sel:DWORD dst_unused:UNUSED_PAD src0_sel:WORD_0 src1_sel:DWORD
	v_or_b32_sdwa v30, v38, v30 dst_sel:WORD_1 dst_unused:UNUSED_PAD src0_sel:BYTE_0 src1_sel:DWORD
	v_cndmask_b32_e32 v21, v25, v21, vcc_lo
	v_or_b32_sdwa v28, v28, v30 dst_sel:DWORD dst_unused:UNUSED_PAD src0_sel:WORD_0 src1_sel:DWORD
	v_lshrrev_b32_e32 v41, 8, v21
	v_cndmask_b32_e32 v20, v28, v20, vcc_lo
	v_cmp_ne_u32_e32 vcc_lo, 0, v19
	v_lshrrev_b32_e32 v28, 24, v18
	v_lshrrev_b32_e32 v42, 24, v21
	;; [unrolled: 1-line block ×3, first 2 shown]
	v_cndmask_b32_e32 v25, 8, v18, vcc_lo
	v_cmp_ne_u32_e32 vcc_lo, 1, v19
	v_cndmask_b32_e32 v24, 8, v24, vcc_lo
	v_cmp_ne_u32_e32 vcc_lo, 21, v19
	v_lshlrev_b16 v24, 8, v24
	v_cndmask_b32_e32 v26, 8, v26, vcc_lo
	v_cmp_ne_u32_e32 vcc_lo, 23, v19
	v_or_b32_sdwa v24, v25, v24 dst_sel:DWORD dst_unused:UNUSED_PAD src0_sel:BYTE_0 src1_sel:DWORD
	v_lshlrev_b16 v26, 8, v26
	v_cndmask_b32_e32 v27, 8, v27, vcc_lo
	v_cmp_ne_u32_e32 vcc_lo, 20, v19
	v_lshrrev_b32_e32 v25, 24, v22
	v_lshlrev_b16 v27, 8, v27
	v_cndmask_b32_e32 v30, 8, v17, vcc_lo
	v_cmp_ne_u32_e32 vcc_lo, 22, v19
	v_or_b32_sdwa v26, v30, v26 dst_sel:DWORD dst_unused:UNUSED_PAD src0_sel:BYTE_0 src1_sel:DWORD
	v_cndmask_b32_e32 v29, 8, v29, vcc_lo
	v_cmp_ne_u32_e32 vcc_lo, 3, v19
	v_lshrrev_b32_e32 v30, 16, v22
	v_or_b32_sdwa v27, v29, v27 dst_sel:WORD_1 dst_unused:UNUSED_PAD src0_sel:BYTE_0 src1_sel:DWORD
	v_cndmask_b32_e32 v28, 8, v28, vcc_lo
	v_cmp_ne_u32_e32 vcc_lo, 2, v19
	v_or_b32_sdwa v26, v26, v27 dst_sel:DWORD dst_unused:UNUSED_PAD src0_sel:WORD_0 src1_sel:DWORD
	v_lshlrev_b16 v28, 8, v28
	v_cndmask_b32_e32 v29, 8, v37, vcc_lo
	v_cmp_eq_u32_e32 vcc_lo, 0, v23
	v_lshrrev_b32_e32 v23, 8, v22
	v_lshrrev_b32_e32 v37, 24, v20
	v_or_b32_sdwa v27, v29, v28 dst_sel:WORD_1 dst_unused:UNUSED_PAD src0_sel:BYTE_0 src1_sel:DWORD
	v_lshrrev_b32_e32 v29, 8, v20
	v_cndmask_b32_e64 v23, 8, v23, s6
	v_cmp_ne_u32_e64 s6, 7, v19
	v_cndmask_b32_e32 v17, v26, v17, vcc_lo
	v_or_b32_sdwa v24, v24, v27 dst_sel:DWORD dst_unused:UNUSED_PAD src0_sel:WORD_0 src1_sel:DWORD
	v_lshlrev_b16 v23, 8, v23
	v_cndmask_b32_e64 v25, 8, v25, s6
	v_cmp_ne_u32_e64 s6, 4, v19
	v_cndmask_b32_e32 v18, v24, v18, vcc_lo
	v_lshrrev_b32_e32 v26, 8, v17
	v_lshlrev_b16 v25, 8, v25
	v_cndmask_b32_e64 v28, 8, v22, s6
	v_cmp_ne_u32_e64 s6, 9, v19
	v_lshrrev_b32_e32 v24, 8, v18
	v_or_b32_sdwa v23, v28, v23 dst_sel:DWORD dst_unused:UNUSED_PAD src0_sel:BYTE_0 src1_sel:DWORD
	v_cndmask_b32_e64 v29, 8, v29, s6
	v_cmp_ne_u32_e64 s6, 6, v19
	v_lshlrev_b16 v29, 8, v29
	v_cndmask_b32_e64 v30, 8, v30, s6
	v_cmp_ne_u32_e64 s6, 8, v19
	v_or_b32_sdwa v25, v30, v25 dst_sel:WORD_1 dst_unused:UNUSED_PAD src0_sel:BYTE_0 src1_sel:DWORD
	v_cndmask_b32_e64 v38, 8, v20, s6
	v_cmp_ne_u32_e64 s6, 11, v19
	v_or_b32_sdwa v23, v23, v25 dst_sel:DWORD dst_unused:UNUSED_PAD src0_sel:WORD_0 src1_sel:DWORD
	v_or_b32_sdwa v28, v38, v29 dst_sel:DWORD dst_unused:UNUSED_PAD src0_sel:BYTE_0 src1_sel:DWORD
	v_cndmask_b32_e64 v37, 8, v37, s6
	v_lshrrev_b32_e32 v29, 8, v12
	v_cmp_ne_u32_e64 s6, 13, v19
	v_lshrrev_b32_e32 v38, 16, v20
	v_cndmask_b32_e32 v22, v23, v22, vcc_lo
	v_lshlrev_b16 v30, 8, v37
	v_lshrrev_b32_e32 v37, 24, v12
	v_cndmask_b32_e64 v29, 8, v29, s6
	v_cmp_ne_u32_e64 s6, 15, v19
	v_and_b32_e32 v23, 0x200, v11
	v_lshlrev_b16 v29, 8, v29
	v_cndmask_b32_e64 v37, 8, v37, s6
	v_cmp_ne_u32_e64 s6, 12, v19
	v_lshlrev_b16 v37, 8, v37
	v_cndmask_b32_e64 v39, 8, v12, s6
	v_cmp_ne_u32_e64 s6, 14, v19
	v_or_b32_sdwa v29, v39, v29 dst_sel:DWORD dst_unused:UNUSED_PAD src0_sel:BYTE_0 src1_sel:DWORD
	v_cndmask_b32_e64 v40, 8, v40, s6
	v_cmp_ne_u32_e64 s6, 17, v19
	v_or_b32_sdwa v37, v40, v37 dst_sel:WORD_1 dst_unused:UNUSED_PAD src0_sel:BYTE_0 src1_sel:DWORD
	v_cndmask_b32_e64 v41, 8, v41, s6
	v_cmp_ne_u32_e64 s6, 19, v19
	v_or_b32_sdwa v27, v29, v37 dst_sel:DWORD dst_unused:UNUSED_PAD src0_sel:WORD_0 src1_sel:DWORD
	v_lshlrev_b16 v41, 8, v41
	v_cndmask_b32_e64 v42, 8, v42, s6
	v_cmp_ne_u32_e64 s6, 16, v19
	v_bfe_u32 v29, v11, 8, 1
	v_cndmask_b32_e32 v12, v27, v12, vcc_lo
	v_lshrrev_b32_e32 v27, 24, v17
	v_lshlrev_b16 v42, 8, v42
	v_cndmask_b32_e64 v44, 8, v21, s6
	v_cmp_ne_u32_e64 s6, 18, v19
	v_lshrrev_b32_e32 v37, 16, v18
	v_lshrrev_b32_e32 v40, 16, v12
	v_or_b32_sdwa v39, v44, v41 dst_sel:DWORD dst_unused:UNUSED_PAD src0_sel:BYTE_0 src1_sel:DWORD
	v_cndmask_b32_e64 v43, 8, v43, s6
	v_cmp_ne_u32_e64 s6, 10, v19
	v_add_nc_u32_e32 v19, v19, v29
	v_lshrrev_b32_e32 v29, 16, v17
	v_or_b32_sdwa v41, v43, v42 dst_sel:WORD_1 dst_unused:UNUSED_PAD src0_sel:BYTE_0 src1_sel:DWORD
	v_cndmask_b32_e64 v38, 8, v38, s6
	v_cmp_ne_u32_e64 s6, 5, v19
	v_or_b32_sdwa v25, v39, v41 dst_sel:DWORD dst_unused:UNUSED_PAD src0_sel:WORD_0 src1_sel:DWORD
	v_or_b32_sdwa v30, v38, v30 dst_sel:WORD_1 dst_unused:UNUSED_PAD src0_sel:BYTE_0 src1_sel:DWORD
	v_cndmask_b32_e32 v21, v25, v21, vcc_lo
	v_or_b32_sdwa v28, v28, v30 dst_sel:DWORD dst_unused:UNUSED_PAD src0_sel:WORD_0 src1_sel:DWORD
	v_lshrrev_b32_e32 v41, 8, v21
	v_cndmask_b32_e32 v20, v28, v20, vcc_lo
	v_cmp_ne_u32_e32 vcc_lo, 0, v19
	v_lshrrev_b32_e32 v28, 24, v18
	v_lshrrev_b32_e32 v42, 24, v21
	;; [unrolled: 1-line block ×3, first 2 shown]
	v_cndmask_b32_e32 v25, 9, v18, vcc_lo
	v_cmp_ne_u32_e32 vcc_lo, 1, v19
	v_cndmask_b32_e32 v24, 9, v24, vcc_lo
	v_cmp_ne_u32_e32 vcc_lo, 21, v19
	v_lshlrev_b16 v24, 8, v24
	v_cndmask_b32_e32 v26, 9, v26, vcc_lo
	v_cmp_ne_u32_e32 vcc_lo, 23, v19
	v_or_b32_sdwa v24, v25, v24 dst_sel:DWORD dst_unused:UNUSED_PAD src0_sel:BYTE_0 src1_sel:DWORD
	v_lshlrev_b16 v26, 8, v26
	v_cndmask_b32_e32 v27, 9, v27, vcc_lo
	v_cmp_ne_u32_e32 vcc_lo, 20, v19
	v_lshrrev_b32_e32 v25, 24, v22
	v_lshlrev_b16 v27, 8, v27
	v_cndmask_b32_e32 v30, 9, v17, vcc_lo
	v_cmp_ne_u32_e32 vcc_lo, 22, v19
	v_or_b32_sdwa v26, v30, v26 dst_sel:DWORD dst_unused:UNUSED_PAD src0_sel:BYTE_0 src1_sel:DWORD
	v_cndmask_b32_e32 v29, 9, v29, vcc_lo
	v_cmp_ne_u32_e32 vcc_lo, 3, v19
	v_lshrrev_b32_e32 v30, 16, v22
	v_or_b32_sdwa v27, v29, v27 dst_sel:WORD_1 dst_unused:UNUSED_PAD src0_sel:BYTE_0 src1_sel:DWORD
	v_cndmask_b32_e32 v28, 9, v28, vcc_lo
	v_cmp_ne_u32_e32 vcc_lo, 2, v19
	v_or_b32_sdwa v26, v26, v27 dst_sel:DWORD dst_unused:UNUSED_PAD src0_sel:WORD_0 src1_sel:DWORD
	v_lshlrev_b16 v28, 8, v28
	v_cndmask_b32_e32 v29, 9, v37, vcc_lo
	v_cmp_eq_u32_e32 vcc_lo, 0, v23
	v_lshrrev_b32_e32 v23, 8, v22
	v_lshrrev_b32_e32 v37, 24, v20
	v_or_b32_sdwa v27, v29, v28 dst_sel:WORD_1 dst_unused:UNUSED_PAD src0_sel:BYTE_0 src1_sel:DWORD
	v_lshrrev_b32_e32 v29, 8, v20
	v_cndmask_b32_e64 v23, 9, v23, s6
	v_cmp_ne_u32_e64 s6, 7, v19
	v_cndmask_b32_e32 v17, v26, v17, vcc_lo
	v_or_b32_sdwa v24, v24, v27 dst_sel:DWORD dst_unused:UNUSED_PAD src0_sel:WORD_0 src1_sel:DWORD
	v_lshlrev_b16 v23, 8, v23
	v_cndmask_b32_e64 v25, 9, v25, s6
	v_cmp_ne_u32_e64 s6, 4, v19
	v_cndmask_b32_e32 v18, v24, v18, vcc_lo
	v_lshrrev_b32_e32 v26, 8, v17
	v_lshlrev_b16 v25, 8, v25
	v_cndmask_b32_e64 v28, 9, v22, s6
	v_cmp_ne_u32_e64 s6, 9, v19
	v_lshrrev_b32_e32 v24, 8, v18
	v_or_b32_sdwa v23, v28, v23 dst_sel:DWORD dst_unused:UNUSED_PAD src0_sel:BYTE_0 src1_sel:DWORD
	v_cndmask_b32_e64 v29, 9, v29, s6
	v_cmp_ne_u32_e64 s6, 6, v19
	v_lshlrev_b16 v29, 8, v29
	v_cndmask_b32_e64 v30, 9, v30, s6
	v_cmp_ne_u32_e64 s6, 8, v19
	v_or_b32_sdwa v25, v30, v25 dst_sel:WORD_1 dst_unused:UNUSED_PAD src0_sel:BYTE_0 src1_sel:DWORD
	v_cndmask_b32_e64 v38, 9, v20, s6
	v_cmp_ne_u32_e64 s6, 11, v19
	v_or_b32_sdwa v23, v23, v25 dst_sel:DWORD dst_unused:UNUSED_PAD src0_sel:WORD_0 src1_sel:DWORD
	v_or_b32_sdwa v28, v38, v29 dst_sel:DWORD dst_unused:UNUSED_PAD src0_sel:BYTE_0 src1_sel:DWORD
	v_cndmask_b32_e64 v37, 9, v37, s6
	v_lshrrev_b32_e32 v29, 8, v12
	v_cmp_ne_u32_e64 s6, 13, v19
	v_lshrrev_b32_e32 v38, 16, v20
	v_cndmask_b32_e32 v22, v23, v22, vcc_lo
	v_lshlrev_b16 v30, 8, v37
	v_lshrrev_b32_e32 v37, 24, v12
	v_cndmask_b32_e64 v29, 9, v29, s6
	v_cmp_ne_u32_e64 s6, 15, v19
	v_and_b32_e32 v23, 0x400, v11
	v_lshlrev_b16 v29, 8, v29
	v_cndmask_b32_e64 v37, 9, v37, s6
	v_cmp_ne_u32_e64 s6, 12, v19
	v_lshlrev_b16 v37, 8, v37
	v_cndmask_b32_e64 v39, 9, v12, s6
	v_cmp_ne_u32_e64 s6, 14, v19
	v_or_b32_sdwa v29, v39, v29 dst_sel:DWORD dst_unused:UNUSED_PAD src0_sel:BYTE_0 src1_sel:DWORD
	v_cndmask_b32_e64 v40, 9, v40, s6
	v_cmp_ne_u32_e64 s6, 17, v19
	v_or_b32_sdwa v37, v40, v37 dst_sel:WORD_1 dst_unused:UNUSED_PAD src0_sel:BYTE_0 src1_sel:DWORD
	v_cndmask_b32_e64 v41, 9, v41, s6
	v_cmp_ne_u32_e64 s6, 19, v19
	v_or_b32_sdwa v27, v29, v37 dst_sel:DWORD dst_unused:UNUSED_PAD src0_sel:WORD_0 src1_sel:DWORD
	v_lshlrev_b16 v41, 8, v41
	v_cndmask_b32_e64 v42, 9, v42, s6
	v_cmp_ne_u32_e64 s6, 16, v19
	v_bfe_u32 v29, v11, 9, 1
	v_cndmask_b32_e32 v12, v27, v12, vcc_lo
	v_lshrrev_b32_e32 v27, 24, v17
	v_lshlrev_b16 v42, 8, v42
	v_cndmask_b32_e64 v44, 9, v21, s6
	v_cmp_ne_u32_e64 s6, 18, v19
	v_lshrrev_b32_e32 v37, 16, v18
	v_lshrrev_b32_e32 v40, 16, v12
	v_or_b32_sdwa v39, v44, v41 dst_sel:DWORD dst_unused:UNUSED_PAD src0_sel:BYTE_0 src1_sel:DWORD
	v_cndmask_b32_e64 v43, 9, v43, s6
	v_cmp_ne_u32_e64 s6, 10, v19
	v_add_nc_u32_e32 v19, v19, v29
	v_lshrrev_b32_e32 v29, 16, v17
	v_or_b32_sdwa v41, v43, v42 dst_sel:WORD_1 dst_unused:UNUSED_PAD src0_sel:BYTE_0 src1_sel:DWORD
	v_cndmask_b32_e64 v38, 9, v38, s6
	v_cmp_ne_u32_e64 s6, 5, v19
	v_or_b32_sdwa v25, v39, v41 dst_sel:DWORD dst_unused:UNUSED_PAD src0_sel:WORD_0 src1_sel:DWORD
	v_or_b32_sdwa v30, v38, v30 dst_sel:WORD_1 dst_unused:UNUSED_PAD src0_sel:BYTE_0 src1_sel:DWORD
	v_cndmask_b32_e32 v21, v25, v21, vcc_lo
	v_or_b32_sdwa v28, v28, v30 dst_sel:DWORD dst_unused:UNUSED_PAD src0_sel:WORD_0 src1_sel:DWORD
	v_lshrrev_b32_e32 v41, 8, v21
	v_cndmask_b32_e32 v20, v28, v20, vcc_lo
	v_cmp_ne_u32_e32 vcc_lo, 0, v19
	v_lshrrev_b32_e32 v28, 24, v18
	v_lshrrev_b32_e32 v42, 24, v21
	;; [unrolled: 1-line block ×3, first 2 shown]
	v_cndmask_b32_e32 v25, 10, v18, vcc_lo
	v_cmp_ne_u32_e32 vcc_lo, 1, v19
	v_cndmask_b32_e32 v24, 10, v24, vcc_lo
	v_cmp_ne_u32_e32 vcc_lo, 21, v19
	v_lshlrev_b16 v24, 8, v24
	v_cndmask_b32_e32 v26, 10, v26, vcc_lo
	v_cmp_ne_u32_e32 vcc_lo, 23, v19
	v_or_b32_sdwa v24, v25, v24 dst_sel:DWORD dst_unused:UNUSED_PAD src0_sel:BYTE_0 src1_sel:DWORD
	v_lshlrev_b16 v26, 8, v26
	v_cndmask_b32_e32 v27, 10, v27, vcc_lo
	v_cmp_ne_u32_e32 vcc_lo, 20, v19
	v_lshrrev_b32_e32 v25, 24, v22
	v_lshlrev_b16 v27, 8, v27
	v_cndmask_b32_e32 v30, 10, v17, vcc_lo
	v_cmp_ne_u32_e32 vcc_lo, 22, v19
	v_or_b32_sdwa v26, v30, v26 dst_sel:DWORD dst_unused:UNUSED_PAD src0_sel:BYTE_0 src1_sel:DWORD
	v_cndmask_b32_e32 v29, 10, v29, vcc_lo
	v_cmp_ne_u32_e32 vcc_lo, 3, v19
	v_lshrrev_b32_e32 v30, 16, v22
	v_or_b32_sdwa v27, v29, v27 dst_sel:WORD_1 dst_unused:UNUSED_PAD src0_sel:BYTE_0 src1_sel:DWORD
	v_cndmask_b32_e32 v28, 10, v28, vcc_lo
	v_cmp_ne_u32_e32 vcc_lo, 2, v19
	v_or_b32_sdwa v26, v26, v27 dst_sel:DWORD dst_unused:UNUSED_PAD src0_sel:WORD_0 src1_sel:DWORD
	v_lshlrev_b16 v28, 8, v28
	v_cndmask_b32_e32 v29, 10, v37, vcc_lo
	v_cmp_eq_u32_e32 vcc_lo, 0, v23
	v_lshrrev_b32_e32 v23, 8, v22
	v_lshrrev_b32_e32 v37, 24, v20
	v_or_b32_sdwa v27, v29, v28 dst_sel:WORD_1 dst_unused:UNUSED_PAD src0_sel:BYTE_0 src1_sel:DWORD
	v_lshrrev_b32_e32 v29, 8, v20
	v_cndmask_b32_e64 v23, 10, v23, s6
	v_cmp_ne_u32_e64 s6, 7, v19
	v_cndmask_b32_e32 v17, v26, v17, vcc_lo
	v_or_b32_sdwa v24, v24, v27 dst_sel:DWORD dst_unused:UNUSED_PAD src0_sel:WORD_0 src1_sel:DWORD
	v_lshlrev_b16 v23, 8, v23
	v_cndmask_b32_e64 v25, 10, v25, s6
	v_cmp_ne_u32_e64 s6, 4, v19
	v_cndmask_b32_e32 v18, v24, v18, vcc_lo
	v_lshrrev_b32_e32 v26, 8, v17
	v_lshlrev_b16 v25, 8, v25
	v_cndmask_b32_e64 v28, 10, v22, s6
	v_cmp_ne_u32_e64 s6, 9, v19
	v_lshrrev_b32_e32 v24, 8, v18
	v_or_b32_sdwa v23, v28, v23 dst_sel:DWORD dst_unused:UNUSED_PAD src0_sel:BYTE_0 src1_sel:DWORD
	v_cndmask_b32_e64 v29, 10, v29, s6
	v_cmp_ne_u32_e64 s6, 6, v19
	v_lshlrev_b16 v29, 8, v29
	v_cndmask_b32_e64 v30, 10, v30, s6
	v_cmp_ne_u32_e64 s6, 8, v19
	v_or_b32_sdwa v25, v30, v25 dst_sel:WORD_1 dst_unused:UNUSED_PAD src0_sel:BYTE_0 src1_sel:DWORD
	v_cndmask_b32_e64 v38, 10, v20, s6
	v_cmp_ne_u32_e64 s6, 11, v19
	v_or_b32_sdwa v23, v23, v25 dst_sel:DWORD dst_unused:UNUSED_PAD src0_sel:WORD_0 src1_sel:DWORD
	v_or_b32_sdwa v28, v38, v29 dst_sel:DWORD dst_unused:UNUSED_PAD src0_sel:BYTE_0 src1_sel:DWORD
	v_cndmask_b32_e64 v37, 10, v37, s6
	v_lshrrev_b32_e32 v29, 8, v12
	v_cmp_ne_u32_e64 s6, 13, v19
	v_lshrrev_b32_e32 v38, 16, v20
	v_cndmask_b32_e32 v22, v23, v22, vcc_lo
	v_lshlrev_b16 v30, 8, v37
	v_lshrrev_b32_e32 v37, 24, v12
	v_cndmask_b32_e64 v29, 10, v29, s6
	v_cmp_ne_u32_e64 s6, 15, v19
	v_and_b32_e32 v23, 0x800, v11
	v_lshlrev_b16 v29, 8, v29
	v_cndmask_b32_e64 v37, 10, v37, s6
	v_cmp_ne_u32_e64 s6, 12, v19
	v_lshlrev_b16 v37, 8, v37
	v_cndmask_b32_e64 v39, 10, v12, s6
	v_cmp_ne_u32_e64 s6, 14, v19
	v_or_b32_sdwa v29, v39, v29 dst_sel:DWORD dst_unused:UNUSED_PAD src0_sel:BYTE_0 src1_sel:DWORD
	v_cndmask_b32_e64 v40, 10, v40, s6
	v_cmp_ne_u32_e64 s6, 17, v19
	v_or_b32_sdwa v37, v40, v37 dst_sel:WORD_1 dst_unused:UNUSED_PAD src0_sel:BYTE_0 src1_sel:DWORD
	v_cndmask_b32_e64 v41, 10, v41, s6
	v_cmp_ne_u32_e64 s6, 19, v19
	v_or_b32_sdwa v27, v29, v37 dst_sel:DWORD dst_unused:UNUSED_PAD src0_sel:WORD_0 src1_sel:DWORD
	v_lshlrev_b16 v41, 8, v41
	v_cndmask_b32_e64 v42, 10, v42, s6
	v_cmp_ne_u32_e64 s6, 16, v19
	v_bfe_u32 v29, v11, 10, 1
	v_cndmask_b32_e32 v12, v27, v12, vcc_lo
	v_lshrrev_b32_e32 v27, 24, v17
	v_lshlrev_b16 v42, 8, v42
	v_cndmask_b32_e64 v44, 10, v21, s6
	v_cmp_ne_u32_e64 s6, 18, v19
	v_lshrrev_b32_e32 v37, 16, v18
	v_lshrrev_b32_e32 v40, 16, v12
	v_or_b32_sdwa v39, v44, v41 dst_sel:DWORD dst_unused:UNUSED_PAD src0_sel:BYTE_0 src1_sel:DWORD
	v_cndmask_b32_e64 v43, 10, v43, s6
	v_cmp_ne_u32_e64 s6, 10, v19
	v_add_nc_u32_e32 v19, v19, v29
	v_lshrrev_b32_e32 v29, 16, v17
	v_or_b32_sdwa v41, v43, v42 dst_sel:WORD_1 dst_unused:UNUSED_PAD src0_sel:BYTE_0 src1_sel:DWORD
	v_cndmask_b32_e64 v38, 10, v38, s6
	v_cmp_ne_u32_e64 s6, 5, v19
	v_or_b32_sdwa v25, v39, v41 dst_sel:DWORD dst_unused:UNUSED_PAD src0_sel:WORD_0 src1_sel:DWORD
	v_or_b32_sdwa v30, v38, v30 dst_sel:WORD_1 dst_unused:UNUSED_PAD src0_sel:BYTE_0 src1_sel:DWORD
	v_cndmask_b32_e32 v21, v25, v21, vcc_lo
	v_or_b32_sdwa v28, v28, v30 dst_sel:DWORD dst_unused:UNUSED_PAD src0_sel:WORD_0 src1_sel:DWORD
	v_lshrrev_b32_e32 v41, 8, v21
	v_cndmask_b32_e32 v20, v28, v20, vcc_lo
	v_cmp_ne_u32_e32 vcc_lo, 0, v19
	v_lshrrev_b32_e32 v28, 24, v18
	v_lshrrev_b32_e32 v42, 24, v21
	;; [unrolled: 1-line block ×3, first 2 shown]
	v_cndmask_b32_e32 v25, 11, v18, vcc_lo
	v_cmp_ne_u32_e32 vcc_lo, 1, v19
	v_cndmask_b32_e32 v24, 11, v24, vcc_lo
	v_cmp_ne_u32_e32 vcc_lo, 21, v19
	v_lshlrev_b16 v24, 8, v24
	v_cndmask_b32_e32 v26, 11, v26, vcc_lo
	v_cmp_ne_u32_e32 vcc_lo, 23, v19
	v_or_b32_sdwa v24, v25, v24 dst_sel:DWORD dst_unused:UNUSED_PAD src0_sel:BYTE_0 src1_sel:DWORD
	v_lshlrev_b16 v26, 8, v26
	v_cndmask_b32_e32 v27, 11, v27, vcc_lo
	v_cmp_ne_u32_e32 vcc_lo, 20, v19
	v_lshrrev_b32_e32 v25, 24, v22
	v_lshlrev_b16 v27, 8, v27
	v_cndmask_b32_e32 v30, 11, v17, vcc_lo
	v_cmp_ne_u32_e32 vcc_lo, 22, v19
	v_or_b32_sdwa v26, v30, v26 dst_sel:DWORD dst_unused:UNUSED_PAD src0_sel:BYTE_0 src1_sel:DWORD
	v_cndmask_b32_e32 v29, 11, v29, vcc_lo
	v_cmp_ne_u32_e32 vcc_lo, 3, v19
	v_lshrrev_b32_e32 v30, 16, v22
	v_or_b32_sdwa v27, v29, v27 dst_sel:WORD_1 dst_unused:UNUSED_PAD src0_sel:BYTE_0 src1_sel:DWORD
	v_cndmask_b32_e32 v28, 11, v28, vcc_lo
	v_cmp_ne_u32_e32 vcc_lo, 2, v19
	v_or_b32_sdwa v26, v26, v27 dst_sel:DWORD dst_unused:UNUSED_PAD src0_sel:WORD_0 src1_sel:DWORD
	v_lshlrev_b16 v28, 8, v28
	v_cndmask_b32_e32 v29, 11, v37, vcc_lo
	v_cmp_eq_u32_e32 vcc_lo, 0, v23
	v_lshrrev_b32_e32 v23, 8, v22
	v_lshrrev_b32_e32 v37, 24, v20
	v_or_b32_sdwa v27, v29, v28 dst_sel:WORD_1 dst_unused:UNUSED_PAD src0_sel:BYTE_0 src1_sel:DWORD
	v_lshrrev_b32_e32 v29, 8, v20
	v_cndmask_b32_e64 v23, 11, v23, s6
	v_cmp_ne_u32_e64 s6, 7, v19
	v_cndmask_b32_e32 v17, v26, v17, vcc_lo
	v_or_b32_sdwa v24, v24, v27 dst_sel:DWORD dst_unused:UNUSED_PAD src0_sel:WORD_0 src1_sel:DWORD
	v_lshlrev_b16 v23, 8, v23
	v_cndmask_b32_e64 v25, 11, v25, s6
	v_cmp_ne_u32_e64 s6, 4, v19
	v_cndmask_b32_e32 v18, v24, v18, vcc_lo
	v_lshrrev_b32_e32 v26, 8, v17
	v_lshlrev_b16 v25, 8, v25
	v_cndmask_b32_e64 v28, 11, v22, s6
	v_cmp_ne_u32_e64 s6, 9, v19
	v_lshrrev_b32_e32 v24, 8, v18
	v_or_b32_sdwa v23, v28, v23 dst_sel:DWORD dst_unused:UNUSED_PAD src0_sel:BYTE_0 src1_sel:DWORD
	v_cndmask_b32_e64 v29, 11, v29, s6
	v_cmp_ne_u32_e64 s6, 6, v19
	v_lshlrev_b16 v29, 8, v29
	v_cndmask_b32_e64 v30, 11, v30, s6
	v_cmp_ne_u32_e64 s6, 8, v19
	v_or_b32_sdwa v25, v30, v25 dst_sel:WORD_1 dst_unused:UNUSED_PAD src0_sel:BYTE_0 src1_sel:DWORD
	v_cndmask_b32_e64 v38, 11, v20, s6
	v_cmp_ne_u32_e64 s6, 11, v19
	v_or_b32_sdwa v23, v23, v25 dst_sel:DWORD dst_unused:UNUSED_PAD src0_sel:WORD_0 src1_sel:DWORD
	v_or_b32_sdwa v28, v38, v29 dst_sel:DWORD dst_unused:UNUSED_PAD src0_sel:BYTE_0 src1_sel:DWORD
	v_cndmask_b32_e64 v37, 11, v37, s6
	v_lshrrev_b32_e32 v29, 8, v12
	v_cmp_ne_u32_e64 s6, 13, v19
	v_lshrrev_b32_e32 v38, 16, v20
	v_cndmask_b32_e32 v22, v23, v22, vcc_lo
	v_lshlrev_b16 v30, 8, v37
	v_lshrrev_b32_e32 v37, 24, v12
	v_cndmask_b32_e64 v29, 11, v29, s6
	v_cmp_ne_u32_e64 s6, 15, v19
	v_and_b32_e32 v23, 0x1000, v11
	v_lshlrev_b16 v29, 8, v29
	v_cndmask_b32_e64 v37, 11, v37, s6
	v_cmp_ne_u32_e64 s6, 12, v19
	v_lshlrev_b16 v37, 8, v37
	v_cndmask_b32_e64 v39, 11, v12, s6
	v_cmp_ne_u32_e64 s6, 14, v19
	v_or_b32_sdwa v29, v39, v29 dst_sel:DWORD dst_unused:UNUSED_PAD src0_sel:BYTE_0 src1_sel:DWORD
	v_cndmask_b32_e64 v40, 11, v40, s6
	v_cmp_ne_u32_e64 s6, 17, v19
	v_or_b32_sdwa v37, v40, v37 dst_sel:WORD_1 dst_unused:UNUSED_PAD src0_sel:BYTE_0 src1_sel:DWORD
	v_cndmask_b32_e64 v41, 11, v41, s6
	v_cmp_ne_u32_e64 s6, 19, v19
	v_or_b32_sdwa v27, v29, v37 dst_sel:DWORD dst_unused:UNUSED_PAD src0_sel:WORD_0 src1_sel:DWORD
	v_lshlrev_b16 v41, 8, v41
	v_cndmask_b32_e64 v42, 11, v42, s6
	v_cmp_ne_u32_e64 s6, 16, v19
	v_bfe_u32 v29, v11, 11, 1
	v_cndmask_b32_e32 v12, v27, v12, vcc_lo
	v_lshrrev_b32_e32 v27, 24, v17
	v_lshlrev_b16 v42, 8, v42
	v_cndmask_b32_e64 v44, 11, v21, s6
	v_cmp_ne_u32_e64 s6, 18, v19
	v_lshrrev_b32_e32 v37, 16, v18
	v_lshrrev_b32_e32 v40, 16, v12
	v_or_b32_sdwa v39, v44, v41 dst_sel:DWORD dst_unused:UNUSED_PAD src0_sel:BYTE_0 src1_sel:DWORD
	v_cndmask_b32_e64 v43, 11, v43, s6
	v_cmp_ne_u32_e64 s6, 10, v19
	v_add_nc_u32_e32 v19, v19, v29
	v_lshrrev_b32_e32 v29, 16, v17
	v_or_b32_sdwa v41, v43, v42 dst_sel:WORD_1 dst_unused:UNUSED_PAD src0_sel:BYTE_0 src1_sel:DWORD
	v_cndmask_b32_e64 v38, 11, v38, s6
	v_cmp_ne_u32_e64 s6, 5, v19
	v_or_b32_sdwa v25, v39, v41 dst_sel:DWORD dst_unused:UNUSED_PAD src0_sel:WORD_0 src1_sel:DWORD
	v_or_b32_sdwa v30, v38, v30 dst_sel:WORD_1 dst_unused:UNUSED_PAD src0_sel:BYTE_0 src1_sel:DWORD
	v_cndmask_b32_e32 v21, v25, v21, vcc_lo
	v_or_b32_sdwa v28, v28, v30 dst_sel:DWORD dst_unused:UNUSED_PAD src0_sel:WORD_0 src1_sel:DWORD
	v_lshrrev_b32_e32 v41, 8, v21
	v_cndmask_b32_e32 v20, v28, v20, vcc_lo
	v_cmp_ne_u32_e32 vcc_lo, 0, v19
	v_lshrrev_b32_e32 v28, 24, v18
	v_lshrrev_b32_e32 v42, 24, v21
	;; [unrolled: 1-line block ×3, first 2 shown]
	v_cndmask_b32_e32 v25, 12, v18, vcc_lo
	v_cmp_ne_u32_e32 vcc_lo, 1, v19
	v_cndmask_b32_e32 v24, 12, v24, vcc_lo
	v_cmp_ne_u32_e32 vcc_lo, 21, v19
	v_lshlrev_b16 v24, 8, v24
	v_cndmask_b32_e32 v26, 12, v26, vcc_lo
	v_cmp_ne_u32_e32 vcc_lo, 23, v19
	v_or_b32_sdwa v24, v25, v24 dst_sel:DWORD dst_unused:UNUSED_PAD src0_sel:BYTE_0 src1_sel:DWORD
	v_lshlrev_b16 v26, 8, v26
	v_cndmask_b32_e32 v27, 12, v27, vcc_lo
	v_cmp_ne_u32_e32 vcc_lo, 20, v19
	v_lshrrev_b32_e32 v25, 24, v22
	v_lshlrev_b16 v27, 8, v27
	v_cndmask_b32_e32 v30, 12, v17, vcc_lo
	v_cmp_ne_u32_e32 vcc_lo, 22, v19
	v_or_b32_sdwa v26, v30, v26 dst_sel:DWORD dst_unused:UNUSED_PAD src0_sel:BYTE_0 src1_sel:DWORD
	v_cndmask_b32_e32 v29, 12, v29, vcc_lo
	v_cmp_ne_u32_e32 vcc_lo, 3, v19
	v_lshrrev_b32_e32 v30, 16, v22
	v_or_b32_sdwa v27, v29, v27 dst_sel:WORD_1 dst_unused:UNUSED_PAD src0_sel:BYTE_0 src1_sel:DWORD
	v_cndmask_b32_e32 v28, 12, v28, vcc_lo
	v_cmp_ne_u32_e32 vcc_lo, 2, v19
	v_or_b32_sdwa v26, v26, v27 dst_sel:DWORD dst_unused:UNUSED_PAD src0_sel:WORD_0 src1_sel:DWORD
	v_lshlrev_b16 v28, 8, v28
	v_cndmask_b32_e32 v29, 12, v37, vcc_lo
	v_cmp_eq_u32_e32 vcc_lo, 0, v23
	v_lshrrev_b32_e32 v23, 8, v22
	v_lshrrev_b32_e32 v37, 24, v20
	v_or_b32_sdwa v27, v29, v28 dst_sel:WORD_1 dst_unused:UNUSED_PAD src0_sel:BYTE_0 src1_sel:DWORD
	v_lshrrev_b32_e32 v29, 8, v20
	v_cndmask_b32_e64 v23, 12, v23, s6
	v_cmp_ne_u32_e64 s6, 7, v19
	v_cndmask_b32_e32 v17, v26, v17, vcc_lo
	v_or_b32_sdwa v24, v24, v27 dst_sel:DWORD dst_unused:UNUSED_PAD src0_sel:WORD_0 src1_sel:DWORD
	v_lshlrev_b16 v23, 8, v23
	v_cndmask_b32_e64 v25, 12, v25, s6
	v_cmp_ne_u32_e64 s6, 4, v19
	v_cndmask_b32_e32 v18, v24, v18, vcc_lo
	v_lshrrev_b32_e32 v26, 8, v17
	v_lshlrev_b16 v25, 8, v25
	v_cndmask_b32_e64 v28, 12, v22, s6
	v_cmp_ne_u32_e64 s6, 9, v19
	v_lshrrev_b32_e32 v24, 8, v18
	v_or_b32_sdwa v23, v28, v23 dst_sel:DWORD dst_unused:UNUSED_PAD src0_sel:BYTE_0 src1_sel:DWORD
	v_cndmask_b32_e64 v29, 12, v29, s6
	v_cmp_ne_u32_e64 s6, 6, v19
	v_lshlrev_b16 v29, 8, v29
	v_cndmask_b32_e64 v30, 12, v30, s6
	v_cmp_ne_u32_e64 s6, 8, v19
	v_or_b32_sdwa v25, v30, v25 dst_sel:WORD_1 dst_unused:UNUSED_PAD src0_sel:BYTE_0 src1_sel:DWORD
	v_cndmask_b32_e64 v38, 12, v20, s6
	v_cmp_ne_u32_e64 s6, 11, v19
	v_or_b32_sdwa v23, v23, v25 dst_sel:DWORD dst_unused:UNUSED_PAD src0_sel:WORD_0 src1_sel:DWORD
	v_or_b32_sdwa v28, v38, v29 dst_sel:DWORD dst_unused:UNUSED_PAD src0_sel:BYTE_0 src1_sel:DWORD
	v_cndmask_b32_e64 v37, 12, v37, s6
	v_lshrrev_b32_e32 v29, 8, v12
	v_cmp_ne_u32_e64 s6, 13, v19
	v_lshrrev_b32_e32 v38, 16, v20
	v_cndmask_b32_e32 v22, v23, v22, vcc_lo
	v_lshlrev_b16 v30, 8, v37
	v_lshrrev_b32_e32 v37, 24, v12
	v_cndmask_b32_e64 v29, 12, v29, s6
	v_cmp_ne_u32_e64 s6, 15, v19
	v_and_b32_e32 v23, 0x2000, v11
	v_lshlrev_b16 v29, 8, v29
	v_cndmask_b32_e64 v37, 12, v37, s6
	v_cmp_ne_u32_e64 s6, 12, v19
	v_lshlrev_b16 v37, 8, v37
	v_cndmask_b32_e64 v39, 12, v12, s6
	v_cmp_ne_u32_e64 s6, 14, v19
	v_or_b32_sdwa v29, v39, v29 dst_sel:DWORD dst_unused:UNUSED_PAD src0_sel:BYTE_0 src1_sel:DWORD
	v_cndmask_b32_e64 v40, 12, v40, s6
	v_cmp_ne_u32_e64 s6, 17, v19
	v_or_b32_sdwa v37, v40, v37 dst_sel:WORD_1 dst_unused:UNUSED_PAD src0_sel:BYTE_0 src1_sel:DWORD
	v_cndmask_b32_e64 v41, 12, v41, s6
	v_cmp_ne_u32_e64 s6, 19, v19
	v_or_b32_sdwa v27, v29, v37 dst_sel:DWORD dst_unused:UNUSED_PAD src0_sel:WORD_0 src1_sel:DWORD
	v_lshlrev_b16 v41, 8, v41
	v_cndmask_b32_e64 v42, 12, v42, s6
	v_cmp_ne_u32_e64 s6, 16, v19
	v_bfe_u32 v29, v11, 12, 1
	v_cndmask_b32_e32 v12, v27, v12, vcc_lo
	v_lshrrev_b32_e32 v27, 24, v17
	v_lshlrev_b16 v42, 8, v42
	v_cndmask_b32_e64 v44, 12, v21, s6
	v_cmp_ne_u32_e64 s6, 18, v19
	v_lshrrev_b32_e32 v37, 16, v18
	v_lshrrev_b32_e32 v40, 16, v12
	v_or_b32_sdwa v39, v44, v41 dst_sel:DWORD dst_unused:UNUSED_PAD src0_sel:BYTE_0 src1_sel:DWORD
	v_cndmask_b32_e64 v43, 12, v43, s6
	v_cmp_ne_u32_e64 s6, 10, v19
	v_add_nc_u32_e32 v19, v19, v29
	v_lshrrev_b32_e32 v29, 16, v17
	v_or_b32_sdwa v41, v43, v42 dst_sel:WORD_1 dst_unused:UNUSED_PAD src0_sel:BYTE_0 src1_sel:DWORD
	v_cndmask_b32_e64 v38, 12, v38, s6
	v_cmp_ne_u32_e64 s6, 5, v19
	v_or_b32_sdwa v25, v39, v41 dst_sel:DWORD dst_unused:UNUSED_PAD src0_sel:WORD_0 src1_sel:DWORD
	v_or_b32_sdwa v30, v38, v30 dst_sel:WORD_1 dst_unused:UNUSED_PAD src0_sel:BYTE_0 src1_sel:DWORD
	v_cndmask_b32_e32 v21, v25, v21, vcc_lo
	v_or_b32_sdwa v28, v28, v30 dst_sel:DWORD dst_unused:UNUSED_PAD src0_sel:WORD_0 src1_sel:DWORD
	v_lshrrev_b32_e32 v41, 8, v21
	v_cndmask_b32_e32 v20, v28, v20, vcc_lo
	v_cmp_ne_u32_e32 vcc_lo, 0, v19
	v_lshrrev_b32_e32 v28, 24, v18
	v_lshrrev_b32_e32 v42, 24, v21
	;; [unrolled: 1-line block ×3, first 2 shown]
	v_cndmask_b32_e32 v25, 13, v18, vcc_lo
	v_cmp_ne_u32_e32 vcc_lo, 1, v19
	v_cndmask_b32_e32 v24, 13, v24, vcc_lo
	v_cmp_ne_u32_e32 vcc_lo, 21, v19
	v_lshlrev_b16 v24, 8, v24
	v_cndmask_b32_e32 v26, 13, v26, vcc_lo
	v_cmp_ne_u32_e32 vcc_lo, 23, v19
	v_or_b32_sdwa v24, v25, v24 dst_sel:DWORD dst_unused:UNUSED_PAD src0_sel:BYTE_0 src1_sel:DWORD
	v_lshlrev_b16 v26, 8, v26
	v_cndmask_b32_e32 v27, 13, v27, vcc_lo
	v_cmp_ne_u32_e32 vcc_lo, 20, v19
	v_lshrrev_b32_e32 v25, 24, v22
	v_lshlrev_b16 v27, 8, v27
	v_cndmask_b32_e32 v30, 13, v17, vcc_lo
	v_cmp_ne_u32_e32 vcc_lo, 22, v19
	v_or_b32_sdwa v26, v30, v26 dst_sel:DWORD dst_unused:UNUSED_PAD src0_sel:BYTE_0 src1_sel:DWORD
	v_cndmask_b32_e32 v29, 13, v29, vcc_lo
	v_cmp_ne_u32_e32 vcc_lo, 3, v19
	v_lshrrev_b32_e32 v30, 16, v22
	v_or_b32_sdwa v27, v29, v27 dst_sel:WORD_1 dst_unused:UNUSED_PAD src0_sel:BYTE_0 src1_sel:DWORD
	v_cndmask_b32_e32 v28, 13, v28, vcc_lo
	v_cmp_ne_u32_e32 vcc_lo, 2, v19
	v_or_b32_sdwa v26, v26, v27 dst_sel:DWORD dst_unused:UNUSED_PAD src0_sel:WORD_0 src1_sel:DWORD
	v_lshlrev_b16 v28, 8, v28
	v_cndmask_b32_e32 v29, 13, v37, vcc_lo
	v_cmp_eq_u32_e32 vcc_lo, 0, v23
	v_lshrrev_b32_e32 v23, 8, v22
	v_lshrrev_b32_e32 v37, 24, v20
	v_or_b32_sdwa v27, v29, v28 dst_sel:WORD_1 dst_unused:UNUSED_PAD src0_sel:BYTE_0 src1_sel:DWORD
	v_lshrrev_b32_e32 v29, 8, v20
	v_cndmask_b32_e64 v23, 13, v23, s6
	v_cmp_ne_u32_e64 s6, 7, v19
	v_cndmask_b32_e32 v17, v26, v17, vcc_lo
	v_or_b32_sdwa v24, v24, v27 dst_sel:DWORD dst_unused:UNUSED_PAD src0_sel:WORD_0 src1_sel:DWORD
	v_lshlrev_b16 v23, 8, v23
	v_cndmask_b32_e64 v25, 13, v25, s6
	v_cmp_ne_u32_e64 s6, 4, v19
	v_cndmask_b32_e32 v18, v24, v18, vcc_lo
	v_lshrrev_b32_e32 v26, 8, v17
	v_lshlrev_b16 v25, 8, v25
	v_cndmask_b32_e64 v28, 13, v22, s6
	v_cmp_ne_u32_e64 s6, 9, v19
	v_lshrrev_b32_e32 v24, 8, v18
	v_or_b32_sdwa v23, v28, v23 dst_sel:DWORD dst_unused:UNUSED_PAD src0_sel:BYTE_0 src1_sel:DWORD
	v_cndmask_b32_e64 v29, 13, v29, s6
	v_cmp_ne_u32_e64 s6, 6, v19
	v_lshlrev_b16 v29, 8, v29
	v_cndmask_b32_e64 v30, 13, v30, s6
	v_cmp_ne_u32_e64 s6, 8, v19
	v_or_b32_sdwa v25, v30, v25 dst_sel:WORD_1 dst_unused:UNUSED_PAD src0_sel:BYTE_0 src1_sel:DWORD
	v_cndmask_b32_e64 v38, 13, v20, s6
	v_cmp_ne_u32_e64 s6, 11, v19
	v_or_b32_sdwa v23, v23, v25 dst_sel:DWORD dst_unused:UNUSED_PAD src0_sel:WORD_0 src1_sel:DWORD
	v_or_b32_sdwa v28, v38, v29 dst_sel:DWORD dst_unused:UNUSED_PAD src0_sel:BYTE_0 src1_sel:DWORD
	v_cndmask_b32_e64 v37, 13, v37, s6
	v_lshrrev_b32_e32 v29, 8, v12
	v_cmp_ne_u32_e64 s6, 13, v19
	v_lshrrev_b32_e32 v38, 16, v20
	v_cndmask_b32_e32 v22, v23, v22, vcc_lo
	v_lshlrev_b16 v30, 8, v37
	v_lshrrev_b32_e32 v37, 24, v12
	v_cndmask_b32_e64 v29, 13, v29, s6
	v_cmp_ne_u32_e64 s6, 15, v19
	v_and_b32_e32 v23, 0x4000, v11
	v_lshlrev_b16 v29, 8, v29
	v_cndmask_b32_e64 v37, 13, v37, s6
	v_cmp_ne_u32_e64 s6, 12, v19
	v_lshlrev_b16 v37, 8, v37
	v_cndmask_b32_e64 v39, 13, v12, s6
	v_cmp_ne_u32_e64 s6, 14, v19
	v_or_b32_sdwa v29, v39, v29 dst_sel:DWORD dst_unused:UNUSED_PAD src0_sel:BYTE_0 src1_sel:DWORD
	v_cndmask_b32_e64 v40, 13, v40, s6
	v_cmp_ne_u32_e64 s6, 17, v19
	v_or_b32_sdwa v37, v40, v37 dst_sel:WORD_1 dst_unused:UNUSED_PAD src0_sel:BYTE_0 src1_sel:DWORD
	v_cndmask_b32_e64 v41, 13, v41, s6
	v_cmp_ne_u32_e64 s6, 19, v19
	v_or_b32_sdwa v27, v29, v37 dst_sel:DWORD dst_unused:UNUSED_PAD src0_sel:WORD_0 src1_sel:DWORD
	v_lshlrev_b16 v41, 8, v41
	v_cndmask_b32_e64 v42, 13, v42, s6
	v_cmp_ne_u32_e64 s6, 16, v19
	v_bfe_u32 v29, v11, 13, 1
	v_cndmask_b32_e32 v12, v27, v12, vcc_lo
	v_lshrrev_b32_e32 v27, 24, v17
	v_lshlrev_b16 v42, 8, v42
	v_cndmask_b32_e64 v44, 13, v21, s6
	v_cmp_ne_u32_e64 s6, 18, v19
	v_lshrrev_b32_e32 v37, 16, v18
	v_lshrrev_b32_e32 v40, 16, v12
	v_or_b32_sdwa v39, v44, v41 dst_sel:DWORD dst_unused:UNUSED_PAD src0_sel:BYTE_0 src1_sel:DWORD
	v_cndmask_b32_e64 v43, 13, v43, s6
	v_cmp_ne_u32_e64 s6, 10, v19
	v_add_nc_u32_e32 v19, v19, v29
	v_lshrrev_b32_e32 v29, 16, v17
	v_or_b32_sdwa v41, v43, v42 dst_sel:WORD_1 dst_unused:UNUSED_PAD src0_sel:BYTE_0 src1_sel:DWORD
	v_cndmask_b32_e64 v38, 13, v38, s6
	v_cmp_ne_u32_e64 s6, 5, v19
	v_or_b32_sdwa v25, v39, v41 dst_sel:DWORD dst_unused:UNUSED_PAD src0_sel:WORD_0 src1_sel:DWORD
	v_or_b32_sdwa v30, v38, v30 dst_sel:WORD_1 dst_unused:UNUSED_PAD src0_sel:BYTE_0 src1_sel:DWORD
	v_cndmask_b32_e32 v21, v25, v21, vcc_lo
	v_or_b32_sdwa v28, v28, v30 dst_sel:DWORD dst_unused:UNUSED_PAD src0_sel:WORD_0 src1_sel:DWORD
	v_lshrrev_b32_e32 v41, 8, v21
	v_cndmask_b32_e32 v20, v28, v20, vcc_lo
	v_cmp_ne_u32_e32 vcc_lo, 0, v19
	v_lshrrev_b32_e32 v28, 24, v18
	v_lshrrev_b32_e32 v42, 24, v21
	;; [unrolled: 1-line block ×3, first 2 shown]
	v_cndmask_b32_e32 v25, 14, v18, vcc_lo
	v_cmp_ne_u32_e32 vcc_lo, 1, v19
	v_cndmask_b32_e32 v24, 14, v24, vcc_lo
	v_cmp_ne_u32_e32 vcc_lo, 21, v19
	v_lshlrev_b16 v24, 8, v24
	v_cndmask_b32_e32 v26, 14, v26, vcc_lo
	v_cmp_ne_u32_e32 vcc_lo, 23, v19
	v_or_b32_sdwa v24, v25, v24 dst_sel:DWORD dst_unused:UNUSED_PAD src0_sel:BYTE_0 src1_sel:DWORD
	v_lshlrev_b16 v26, 8, v26
	v_cndmask_b32_e32 v27, 14, v27, vcc_lo
	v_cmp_ne_u32_e32 vcc_lo, 20, v19
	v_lshrrev_b32_e32 v25, 24, v22
	v_lshlrev_b16 v27, 8, v27
	v_cndmask_b32_e32 v30, 14, v17, vcc_lo
	v_cmp_ne_u32_e32 vcc_lo, 22, v19
	v_or_b32_sdwa v26, v30, v26 dst_sel:DWORD dst_unused:UNUSED_PAD src0_sel:BYTE_0 src1_sel:DWORD
	v_cndmask_b32_e32 v29, 14, v29, vcc_lo
	v_cmp_ne_u32_e32 vcc_lo, 3, v19
	v_lshrrev_b32_e32 v30, 16, v22
	v_or_b32_sdwa v27, v29, v27 dst_sel:WORD_1 dst_unused:UNUSED_PAD src0_sel:BYTE_0 src1_sel:DWORD
	v_cndmask_b32_e32 v28, 14, v28, vcc_lo
	v_cmp_ne_u32_e32 vcc_lo, 2, v19
	v_or_b32_sdwa v26, v26, v27 dst_sel:DWORD dst_unused:UNUSED_PAD src0_sel:WORD_0 src1_sel:DWORD
	v_lshlrev_b16 v28, 8, v28
	v_cndmask_b32_e32 v29, 14, v37, vcc_lo
	v_cmp_eq_u32_e32 vcc_lo, 0, v23
	v_lshrrev_b32_e32 v23, 8, v22
	v_lshrrev_b32_e32 v37, 24, v20
	v_or_b32_sdwa v27, v29, v28 dst_sel:WORD_1 dst_unused:UNUSED_PAD src0_sel:BYTE_0 src1_sel:DWORD
	v_lshrrev_b32_e32 v29, 8, v20
	v_cndmask_b32_e64 v23, 14, v23, s6
	v_cmp_ne_u32_e64 s6, 7, v19
	v_cndmask_b32_e32 v17, v26, v17, vcc_lo
	v_or_b32_sdwa v24, v24, v27 dst_sel:DWORD dst_unused:UNUSED_PAD src0_sel:WORD_0 src1_sel:DWORD
	v_lshlrev_b16 v23, 8, v23
	v_cndmask_b32_e64 v25, 14, v25, s6
	v_cmp_ne_u32_e64 s6, 4, v19
	v_cndmask_b32_e32 v18, v24, v18, vcc_lo
	v_lshrrev_b32_e32 v26, 8, v17
	v_lshlrev_b16 v25, 8, v25
	v_cndmask_b32_e64 v28, 14, v22, s6
	v_cmp_ne_u32_e64 s6, 9, v19
	v_lshrrev_b32_e32 v24, 8, v18
	v_or_b32_sdwa v23, v28, v23 dst_sel:DWORD dst_unused:UNUSED_PAD src0_sel:BYTE_0 src1_sel:DWORD
	v_cndmask_b32_e64 v29, 14, v29, s6
	v_cmp_ne_u32_e64 s6, 6, v19
	v_lshlrev_b16 v29, 8, v29
	v_cndmask_b32_e64 v30, 14, v30, s6
	v_cmp_ne_u32_e64 s6, 8, v19
	v_or_b32_sdwa v25, v30, v25 dst_sel:WORD_1 dst_unused:UNUSED_PAD src0_sel:BYTE_0 src1_sel:DWORD
	v_cndmask_b32_e64 v38, 14, v20, s6
	v_cmp_ne_u32_e64 s6, 11, v19
	v_or_b32_sdwa v23, v23, v25 dst_sel:DWORD dst_unused:UNUSED_PAD src0_sel:WORD_0 src1_sel:DWORD
	v_or_b32_sdwa v28, v38, v29 dst_sel:DWORD dst_unused:UNUSED_PAD src0_sel:BYTE_0 src1_sel:DWORD
	v_cndmask_b32_e64 v37, 14, v37, s6
	v_lshrrev_b32_e32 v29, 8, v12
	v_cmp_ne_u32_e64 s6, 13, v19
	v_lshrrev_b32_e32 v38, 16, v20
	v_cndmask_b32_e32 v22, v23, v22, vcc_lo
	v_lshlrev_b16 v30, 8, v37
	v_lshrrev_b32_e32 v37, 24, v12
	v_cndmask_b32_e64 v29, 14, v29, s6
	v_cmp_ne_u32_e64 s6, 15, v19
	v_and_b32_e32 v23, 0x8000, v11
	v_lshlrev_b16 v29, 8, v29
	v_cndmask_b32_e64 v37, 14, v37, s6
	v_cmp_ne_u32_e64 s6, 12, v19
	v_lshlrev_b16 v37, 8, v37
	v_cndmask_b32_e64 v39, 14, v12, s6
	v_cmp_ne_u32_e64 s6, 14, v19
	v_or_b32_sdwa v29, v39, v29 dst_sel:DWORD dst_unused:UNUSED_PAD src0_sel:BYTE_0 src1_sel:DWORD
	v_cndmask_b32_e64 v40, 14, v40, s6
	v_cmp_ne_u32_e64 s6, 17, v19
	v_or_b32_sdwa v37, v40, v37 dst_sel:WORD_1 dst_unused:UNUSED_PAD src0_sel:BYTE_0 src1_sel:DWORD
	v_cndmask_b32_e64 v41, 14, v41, s6
	v_cmp_ne_u32_e64 s6, 19, v19
	v_or_b32_sdwa v27, v29, v37 dst_sel:DWORD dst_unused:UNUSED_PAD src0_sel:WORD_0 src1_sel:DWORD
	v_lshlrev_b16 v41, 8, v41
	v_cndmask_b32_e64 v42, 14, v42, s6
	v_cmp_ne_u32_e64 s6, 16, v19
	v_bfe_u32 v29, v11, 14, 1
	v_cndmask_b32_e32 v12, v27, v12, vcc_lo
	v_lshrrev_b32_e32 v27, 24, v17
	v_lshlrev_b16 v42, 8, v42
	v_cndmask_b32_e64 v44, 14, v21, s6
	v_cmp_ne_u32_e64 s6, 18, v19
	v_lshrrev_b32_e32 v37, 16, v18
	v_lshrrev_b32_e32 v40, 16, v12
	v_or_b32_sdwa v39, v44, v41 dst_sel:DWORD dst_unused:UNUSED_PAD src0_sel:BYTE_0 src1_sel:DWORD
	v_cndmask_b32_e64 v43, 14, v43, s6
	v_cmp_ne_u32_e64 s6, 10, v19
	v_add_nc_u32_e32 v19, v19, v29
	v_lshrrev_b32_e32 v29, 16, v17
	v_or_b32_sdwa v41, v43, v42 dst_sel:WORD_1 dst_unused:UNUSED_PAD src0_sel:BYTE_0 src1_sel:DWORD
	v_cndmask_b32_e64 v38, 14, v38, s6
	v_cmp_ne_u32_e64 s6, 5, v19
	v_or_b32_sdwa v25, v39, v41 dst_sel:DWORD dst_unused:UNUSED_PAD src0_sel:WORD_0 src1_sel:DWORD
	v_or_b32_sdwa v30, v38, v30 dst_sel:WORD_1 dst_unused:UNUSED_PAD src0_sel:BYTE_0 src1_sel:DWORD
	v_cndmask_b32_e32 v21, v25, v21, vcc_lo
	v_or_b32_sdwa v28, v28, v30 dst_sel:DWORD dst_unused:UNUSED_PAD src0_sel:WORD_0 src1_sel:DWORD
	v_lshrrev_b32_e32 v41, 8, v21
	v_cndmask_b32_e32 v20, v28, v20, vcc_lo
	v_cmp_ne_u32_e32 vcc_lo, 0, v19
	v_lshrrev_b32_e32 v28, 24, v18
	v_lshrrev_b32_e32 v42, 24, v21
	;; [unrolled: 1-line block ×3, first 2 shown]
	v_cndmask_b32_e32 v25, 15, v18, vcc_lo
	v_cmp_ne_u32_e32 vcc_lo, 1, v19
	v_cndmask_b32_e32 v24, 15, v24, vcc_lo
	v_cmp_ne_u32_e32 vcc_lo, 21, v19
	v_lshlrev_b16 v24, 8, v24
	v_cndmask_b32_e32 v26, 15, v26, vcc_lo
	v_cmp_ne_u32_e32 vcc_lo, 23, v19
	v_or_b32_sdwa v24, v25, v24 dst_sel:DWORD dst_unused:UNUSED_PAD src0_sel:BYTE_0 src1_sel:DWORD
	v_lshlrev_b16 v26, 8, v26
	v_cndmask_b32_e32 v27, 15, v27, vcc_lo
	v_cmp_ne_u32_e32 vcc_lo, 20, v19
	v_lshrrev_b32_e32 v25, 24, v22
	v_lshlrev_b16 v27, 8, v27
	v_cndmask_b32_e32 v30, 15, v17, vcc_lo
	v_cmp_ne_u32_e32 vcc_lo, 22, v19
	v_or_b32_sdwa v26, v30, v26 dst_sel:DWORD dst_unused:UNUSED_PAD src0_sel:BYTE_0 src1_sel:DWORD
	v_cndmask_b32_e32 v29, 15, v29, vcc_lo
	v_cmp_ne_u32_e32 vcc_lo, 3, v19
	v_lshrrev_b32_e32 v30, 16, v22
	v_or_b32_sdwa v27, v29, v27 dst_sel:WORD_1 dst_unused:UNUSED_PAD src0_sel:BYTE_0 src1_sel:DWORD
	v_cndmask_b32_e32 v28, 15, v28, vcc_lo
	v_cmp_ne_u32_e32 vcc_lo, 2, v19
	v_or_b32_sdwa v26, v26, v27 dst_sel:DWORD dst_unused:UNUSED_PAD src0_sel:WORD_0 src1_sel:DWORD
	v_lshlrev_b16 v28, 8, v28
	v_cndmask_b32_e32 v29, 15, v37, vcc_lo
	v_cmp_eq_u32_e32 vcc_lo, 0, v23
	v_lshrrev_b32_e32 v23, 8, v22
	v_lshrrev_b32_e32 v37, 24, v20
	v_or_b32_sdwa v27, v29, v28 dst_sel:WORD_1 dst_unused:UNUSED_PAD src0_sel:BYTE_0 src1_sel:DWORD
	v_lshrrev_b32_e32 v29, 8, v20
	v_cndmask_b32_e64 v23, 15, v23, s6
	v_cmp_ne_u32_e64 s6, 7, v19
	v_cndmask_b32_e32 v17, v26, v17, vcc_lo
	v_or_b32_sdwa v24, v24, v27 dst_sel:DWORD dst_unused:UNUSED_PAD src0_sel:WORD_0 src1_sel:DWORD
	v_lshlrev_b16 v23, 8, v23
	v_cndmask_b32_e64 v25, 15, v25, s6
	v_cmp_ne_u32_e64 s6, 4, v19
	v_cndmask_b32_e32 v18, v24, v18, vcc_lo
	v_lshrrev_b32_e32 v26, 8, v17
	v_lshlrev_b16 v25, 8, v25
	v_cndmask_b32_e64 v28, 15, v22, s6
	v_cmp_ne_u32_e64 s6, 9, v19
	v_lshrrev_b32_e32 v24, 8, v18
	v_or_b32_sdwa v23, v28, v23 dst_sel:DWORD dst_unused:UNUSED_PAD src0_sel:BYTE_0 src1_sel:DWORD
	v_cndmask_b32_e64 v29, 15, v29, s6
	v_cmp_ne_u32_e64 s6, 6, v19
	v_lshlrev_b16 v29, 8, v29
	v_cndmask_b32_e64 v30, 15, v30, s6
	v_cmp_ne_u32_e64 s6, 8, v19
	v_or_b32_sdwa v25, v30, v25 dst_sel:WORD_1 dst_unused:UNUSED_PAD src0_sel:BYTE_0 src1_sel:DWORD
	v_cndmask_b32_e64 v38, 15, v20, s6
	v_cmp_ne_u32_e64 s6, 11, v19
	v_or_b32_sdwa v23, v23, v25 dst_sel:DWORD dst_unused:UNUSED_PAD src0_sel:WORD_0 src1_sel:DWORD
	v_or_b32_sdwa v28, v38, v29 dst_sel:DWORD dst_unused:UNUSED_PAD src0_sel:BYTE_0 src1_sel:DWORD
	v_cndmask_b32_e64 v37, 15, v37, s6
	v_lshrrev_b32_e32 v29, 8, v12
	v_cmp_ne_u32_e64 s6, 13, v19
	v_lshrrev_b32_e32 v38, 16, v20
	v_cndmask_b32_e32 v22, v23, v22, vcc_lo
	v_lshlrev_b16 v30, 8, v37
	v_lshrrev_b32_e32 v37, 24, v12
	v_cndmask_b32_e64 v29, 15, v29, s6
	v_cmp_ne_u32_e64 s6, 15, v19
	v_and_b32_e32 v23, 0x10000, v11
	v_lshlrev_b16 v29, 8, v29
	v_cndmask_b32_e64 v37, 15, v37, s6
	v_cmp_ne_u32_e64 s6, 12, v19
	v_lshlrev_b16 v37, 8, v37
	v_cndmask_b32_e64 v39, 15, v12, s6
	v_cmp_ne_u32_e64 s6, 14, v19
	v_or_b32_sdwa v29, v39, v29 dst_sel:DWORD dst_unused:UNUSED_PAD src0_sel:BYTE_0 src1_sel:DWORD
	v_cndmask_b32_e64 v40, 15, v40, s6
	v_cmp_ne_u32_e64 s6, 17, v19
	v_or_b32_sdwa v37, v40, v37 dst_sel:WORD_1 dst_unused:UNUSED_PAD src0_sel:BYTE_0 src1_sel:DWORD
	v_cndmask_b32_e64 v41, 15, v41, s6
	v_cmp_ne_u32_e64 s6, 19, v19
	v_or_b32_sdwa v27, v29, v37 dst_sel:DWORD dst_unused:UNUSED_PAD src0_sel:WORD_0 src1_sel:DWORD
	v_lshlrev_b16 v41, 8, v41
	v_cndmask_b32_e64 v42, 15, v42, s6
	v_cmp_ne_u32_e64 s6, 16, v19
	v_bfe_u32 v29, v11, 15, 1
	v_cndmask_b32_e32 v12, v27, v12, vcc_lo
	v_lshrrev_b32_e32 v27, 24, v17
	v_lshlrev_b16 v42, 8, v42
	v_cndmask_b32_e64 v44, 15, v21, s6
	v_cmp_ne_u32_e64 s6, 18, v19
	v_lshrrev_b32_e32 v37, 16, v18
	v_lshrrev_b32_e32 v40, 16, v12
	v_or_b32_sdwa v39, v44, v41 dst_sel:DWORD dst_unused:UNUSED_PAD src0_sel:BYTE_0 src1_sel:DWORD
	v_cndmask_b32_e64 v43, 15, v43, s6
	v_cmp_ne_u32_e64 s6, 10, v19
	v_add_nc_u32_e32 v19, v19, v29
	v_lshrrev_b32_e32 v29, 16, v17
	v_or_b32_sdwa v41, v43, v42 dst_sel:WORD_1 dst_unused:UNUSED_PAD src0_sel:BYTE_0 src1_sel:DWORD
	v_cndmask_b32_e64 v38, 15, v38, s6
	v_cmp_ne_u32_e64 s6, 5, v19
	v_or_b32_sdwa v25, v39, v41 dst_sel:DWORD dst_unused:UNUSED_PAD src0_sel:WORD_0 src1_sel:DWORD
	v_or_b32_sdwa v30, v38, v30 dst_sel:WORD_1 dst_unused:UNUSED_PAD src0_sel:BYTE_0 src1_sel:DWORD
	v_cndmask_b32_e32 v21, v25, v21, vcc_lo
	v_or_b32_sdwa v28, v28, v30 dst_sel:DWORD dst_unused:UNUSED_PAD src0_sel:WORD_0 src1_sel:DWORD
	v_lshrrev_b32_e32 v41, 8, v21
	v_cndmask_b32_e32 v20, v28, v20, vcc_lo
	v_cmp_ne_u32_e32 vcc_lo, 0, v19
	v_lshrrev_b32_e32 v28, 24, v18
	v_lshrrev_b32_e32 v42, 24, v21
	;; [unrolled: 1-line block ×3, first 2 shown]
	v_cndmask_b32_e32 v25, 16, v18, vcc_lo
	v_cmp_ne_u32_e32 vcc_lo, 1, v19
	v_cndmask_b32_e32 v24, 16, v24, vcc_lo
	v_cmp_ne_u32_e32 vcc_lo, 21, v19
	v_lshlrev_b16 v24, 8, v24
	v_cndmask_b32_e32 v26, 16, v26, vcc_lo
	v_cmp_ne_u32_e32 vcc_lo, 23, v19
	v_or_b32_sdwa v24, v25, v24 dst_sel:DWORD dst_unused:UNUSED_PAD src0_sel:BYTE_0 src1_sel:DWORD
	v_lshlrev_b16 v26, 8, v26
	v_cndmask_b32_e32 v27, 16, v27, vcc_lo
	v_cmp_ne_u32_e32 vcc_lo, 20, v19
	v_lshrrev_b32_e32 v25, 24, v22
	v_lshlrev_b16 v27, 8, v27
	v_cndmask_b32_e32 v30, 16, v17, vcc_lo
	v_cmp_ne_u32_e32 vcc_lo, 22, v19
	v_or_b32_sdwa v26, v30, v26 dst_sel:DWORD dst_unused:UNUSED_PAD src0_sel:BYTE_0 src1_sel:DWORD
	v_cndmask_b32_e32 v29, 16, v29, vcc_lo
	v_cmp_ne_u32_e32 vcc_lo, 3, v19
	v_lshrrev_b32_e32 v30, 16, v22
	v_or_b32_sdwa v27, v29, v27 dst_sel:WORD_1 dst_unused:UNUSED_PAD src0_sel:BYTE_0 src1_sel:DWORD
	v_cndmask_b32_e32 v28, 16, v28, vcc_lo
	v_cmp_ne_u32_e32 vcc_lo, 2, v19
	v_or_b32_sdwa v26, v26, v27 dst_sel:DWORD dst_unused:UNUSED_PAD src0_sel:WORD_0 src1_sel:DWORD
	v_lshlrev_b16 v28, 8, v28
	v_cndmask_b32_e32 v29, 16, v37, vcc_lo
	v_cmp_eq_u32_e32 vcc_lo, 0, v23
	v_lshrrev_b32_e32 v23, 8, v22
	v_lshrrev_b32_e32 v37, 24, v20
	v_or_b32_sdwa v27, v29, v28 dst_sel:WORD_1 dst_unused:UNUSED_PAD src0_sel:BYTE_0 src1_sel:DWORD
	v_lshrrev_b32_e32 v29, 8, v20
	v_cndmask_b32_e64 v23, 16, v23, s6
	v_cmp_ne_u32_e64 s6, 7, v19
	v_cndmask_b32_e32 v17, v26, v17, vcc_lo
	v_or_b32_sdwa v24, v24, v27 dst_sel:DWORD dst_unused:UNUSED_PAD src0_sel:WORD_0 src1_sel:DWORD
	v_lshlrev_b16 v23, 8, v23
	v_cndmask_b32_e64 v25, 16, v25, s6
	v_cmp_ne_u32_e64 s6, 4, v19
	v_cndmask_b32_e32 v18, v24, v18, vcc_lo
	v_lshrrev_b32_e32 v26, 8, v17
	v_lshlrev_b16 v25, 8, v25
	v_cndmask_b32_e64 v28, 16, v22, s6
	v_cmp_ne_u32_e64 s6, 9, v19
	v_lshrrev_b32_e32 v24, 8, v18
	v_or_b32_sdwa v23, v28, v23 dst_sel:DWORD dst_unused:UNUSED_PAD src0_sel:BYTE_0 src1_sel:DWORD
	v_cndmask_b32_e64 v29, 16, v29, s6
	v_cmp_ne_u32_e64 s6, 6, v19
	v_lshlrev_b16 v29, 8, v29
	v_cndmask_b32_e64 v30, 16, v30, s6
	v_cmp_ne_u32_e64 s6, 8, v19
	v_or_b32_sdwa v25, v30, v25 dst_sel:WORD_1 dst_unused:UNUSED_PAD src0_sel:BYTE_0 src1_sel:DWORD
	v_cndmask_b32_e64 v38, 16, v20, s6
	v_cmp_ne_u32_e64 s6, 11, v19
	v_or_b32_sdwa v23, v23, v25 dst_sel:DWORD dst_unused:UNUSED_PAD src0_sel:WORD_0 src1_sel:DWORD
	v_or_b32_sdwa v28, v38, v29 dst_sel:DWORD dst_unused:UNUSED_PAD src0_sel:BYTE_0 src1_sel:DWORD
	v_cndmask_b32_e64 v37, 16, v37, s6
	v_lshrrev_b32_e32 v29, 8, v12
	v_cmp_ne_u32_e64 s6, 13, v19
	v_lshrrev_b32_e32 v38, 16, v20
	v_cndmask_b32_e32 v22, v23, v22, vcc_lo
	v_lshlrev_b16 v30, 8, v37
	v_lshrrev_b32_e32 v37, 24, v12
	v_cndmask_b32_e64 v29, 16, v29, s6
	v_cmp_ne_u32_e64 s6, 15, v19
	v_and_b32_e32 v23, 0x20000, v11
	v_lshlrev_b16 v29, 8, v29
	v_cndmask_b32_e64 v37, 16, v37, s6
	v_cmp_ne_u32_e64 s6, 12, v19
	v_lshlrev_b16 v37, 8, v37
	v_cndmask_b32_e64 v39, 16, v12, s6
	v_cmp_ne_u32_e64 s6, 14, v19
	v_or_b32_sdwa v29, v39, v29 dst_sel:DWORD dst_unused:UNUSED_PAD src0_sel:BYTE_0 src1_sel:DWORD
	v_cndmask_b32_e64 v40, 16, v40, s6
	v_cmp_ne_u32_e64 s6, 17, v19
	v_or_b32_sdwa v37, v40, v37 dst_sel:WORD_1 dst_unused:UNUSED_PAD src0_sel:BYTE_0 src1_sel:DWORD
	v_cndmask_b32_e64 v41, 16, v41, s6
	v_cmp_ne_u32_e64 s6, 19, v19
	v_or_b32_sdwa v27, v29, v37 dst_sel:DWORD dst_unused:UNUSED_PAD src0_sel:WORD_0 src1_sel:DWORD
	v_lshlrev_b16 v41, 8, v41
	v_cndmask_b32_e64 v42, 16, v42, s6
	v_cmp_ne_u32_e64 s6, 16, v19
	v_bfe_u32 v29, v11, 16, 1
	v_cndmask_b32_e32 v12, v27, v12, vcc_lo
	v_lshrrev_b32_e32 v27, 24, v17
	v_lshlrev_b16 v42, 8, v42
	v_cndmask_b32_e64 v44, 16, v21, s6
	v_cmp_ne_u32_e64 s6, 18, v19
	v_lshrrev_b32_e32 v37, 16, v18
	v_lshrrev_b32_e32 v40, 16, v12
	v_or_b32_sdwa v39, v44, v41 dst_sel:DWORD dst_unused:UNUSED_PAD src0_sel:BYTE_0 src1_sel:DWORD
	v_cndmask_b32_e64 v43, 16, v43, s6
	v_cmp_ne_u32_e64 s6, 10, v19
	v_add_nc_u32_e32 v19, v19, v29
	v_lshrrev_b32_e32 v29, 16, v17
	v_or_b32_sdwa v41, v43, v42 dst_sel:WORD_1 dst_unused:UNUSED_PAD src0_sel:BYTE_0 src1_sel:DWORD
	v_cndmask_b32_e64 v38, 16, v38, s6
	v_cmp_ne_u32_e64 s6, 5, v19
	v_or_b32_sdwa v25, v39, v41 dst_sel:DWORD dst_unused:UNUSED_PAD src0_sel:WORD_0 src1_sel:DWORD
	v_or_b32_sdwa v30, v38, v30 dst_sel:WORD_1 dst_unused:UNUSED_PAD src0_sel:BYTE_0 src1_sel:DWORD
	v_cndmask_b32_e32 v21, v25, v21, vcc_lo
	v_or_b32_sdwa v28, v28, v30 dst_sel:DWORD dst_unused:UNUSED_PAD src0_sel:WORD_0 src1_sel:DWORD
	v_lshrrev_b32_e32 v41, 8, v21
	v_cndmask_b32_e32 v20, v28, v20, vcc_lo
	v_cmp_ne_u32_e32 vcc_lo, 0, v19
	v_lshrrev_b32_e32 v28, 24, v18
	v_lshrrev_b32_e32 v42, 24, v21
	v_lshrrev_b32_e32 v43, 16, v21
	v_cndmask_b32_e32 v25, 17, v18, vcc_lo
	v_cmp_ne_u32_e32 vcc_lo, 1, v19
	v_cndmask_b32_e32 v24, 17, v24, vcc_lo
	v_cmp_ne_u32_e32 vcc_lo, 21, v19
	v_lshlrev_b16 v24, 8, v24
	v_cndmask_b32_e32 v26, 17, v26, vcc_lo
	v_cmp_ne_u32_e32 vcc_lo, 23, v19
	v_or_b32_sdwa v24, v25, v24 dst_sel:DWORD dst_unused:UNUSED_PAD src0_sel:BYTE_0 src1_sel:DWORD
	v_lshlrev_b16 v26, 8, v26
	v_cndmask_b32_e32 v27, 17, v27, vcc_lo
	v_cmp_ne_u32_e32 vcc_lo, 20, v19
	v_lshrrev_b32_e32 v25, 24, v22
	v_lshlrev_b16 v27, 8, v27
	v_cndmask_b32_e32 v30, 17, v17, vcc_lo
	v_cmp_ne_u32_e32 vcc_lo, 22, v19
	v_or_b32_sdwa v26, v30, v26 dst_sel:DWORD dst_unused:UNUSED_PAD src0_sel:BYTE_0 src1_sel:DWORD
	v_cndmask_b32_e32 v29, 17, v29, vcc_lo
	v_cmp_ne_u32_e32 vcc_lo, 3, v19
	v_lshrrev_b32_e32 v30, 16, v22
	v_or_b32_sdwa v27, v29, v27 dst_sel:WORD_1 dst_unused:UNUSED_PAD src0_sel:BYTE_0 src1_sel:DWORD
	v_cndmask_b32_e32 v28, 17, v28, vcc_lo
	v_cmp_ne_u32_e32 vcc_lo, 2, v19
	v_or_b32_sdwa v26, v26, v27 dst_sel:DWORD dst_unused:UNUSED_PAD src0_sel:WORD_0 src1_sel:DWORD
	v_lshlrev_b16 v28, 8, v28
	v_cndmask_b32_e32 v29, 17, v37, vcc_lo
	v_cmp_eq_u32_e32 vcc_lo, 0, v23
	v_lshrrev_b32_e32 v23, 8, v22
	v_lshrrev_b32_e32 v37, 24, v20
	v_or_b32_sdwa v27, v29, v28 dst_sel:WORD_1 dst_unused:UNUSED_PAD src0_sel:BYTE_0 src1_sel:DWORD
	v_lshrrev_b32_e32 v29, 8, v20
	v_cndmask_b32_e64 v23, 17, v23, s6
	v_cmp_ne_u32_e64 s6, 7, v19
	v_cndmask_b32_e32 v17, v26, v17, vcc_lo
	v_or_b32_sdwa v24, v24, v27 dst_sel:DWORD dst_unused:UNUSED_PAD src0_sel:WORD_0 src1_sel:DWORD
	v_lshlrev_b16 v23, 8, v23
	v_cndmask_b32_e64 v25, 17, v25, s6
	v_cmp_ne_u32_e64 s6, 4, v19
	v_cndmask_b32_e32 v18, v24, v18, vcc_lo
	v_lshrrev_b32_e32 v26, 8, v17
	v_lshlrev_b16 v25, 8, v25
	v_cndmask_b32_e64 v28, 17, v22, s6
	v_cmp_ne_u32_e64 s6, 9, v19
	v_lshrrev_b32_e32 v24, 8, v18
	v_or_b32_sdwa v23, v28, v23 dst_sel:DWORD dst_unused:UNUSED_PAD src0_sel:BYTE_0 src1_sel:DWORD
	v_cndmask_b32_e64 v29, 17, v29, s6
	v_cmp_ne_u32_e64 s6, 6, v19
	v_lshlrev_b16 v29, 8, v29
	v_cndmask_b32_e64 v30, 17, v30, s6
	v_cmp_ne_u32_e64 s6, 8, v19
	v_or_b32_sdwa v25, v30, v25 dst_sel:WORD_1 dst_unused:UNUSED_PAD src0_sel:BYTE_0 src1_sel:DWORD
	v_cndmask_b32_e64 v38, 17, v20, s6
	v_cmp_ne_u32_e64 s6, 11, v19
	v_or_b32_sdwa v23, v23, v25 dst_sel:DWORD dst_unused:UNUSED_PAD src0_sel:WORD_0 src1_sel:DWORD
	v_or_b32_sdwa v28, v38, v29 dst_sel:DWORD dst_unused:UNUSED_PAD src0_sel:BYTE_0 src1_sel:DWORD
	v_cndmask_b32_e64 v37, 17, v37, s6
	v_lshrrev_b32_e32 v29, 8, v12
	v_cmp_ne_u32_e64 s6, 13, v19
	v_lshrrev_b32_e32 v38, 16, v20
	v_cndmask_b32_e32 v22, v23, v22, vcc_lo
	v_lshlrev_b16 v30, 8, v37
	v_lshrrev_b32_e32 v37, 24, v12
	v_cndmask_b32_e64 v29, 17, v29, s6
	v_cmp_ne_u32_e64 s6, 15, v19
	v_and_b32_e32 v23, 0x40000, v11
	v_lshlrev_b16 v29, 8, v29
	v_cndmask_b32_e64 v37, 17, v37, s6
	v_cmp_ne_u32_e64 s6, 12, v19
	v_lshlrev_b16 v37, 8, v37
	v_cndmask_b32_e64 v39, 17, v12, s6
	v_cmp_ne_u32_e64 s6, 14, v19
	v_or_b32_sdwa v29, v39, v29 dst_sel:DWORD dst_unused:UNUSED_PAD src0_sel:BYTE_0 src1_sel:DWORD
	v_cndmask_b32_e64 v40, 17, v40, s6
	v_cmp_ne_u32_e64 s6, 17, v19
	v_or_b32_sdwa v37, v40, v37 dst_sel:WORD_1 dst_unused:UNUSED_PAD src0_sel:BYTE_0 src1_sel:DWORD
	v_cndmask_b32_e64 v41, 17, v41, s6
	v_cmp_ne_u32_e64 s6, 19, v19
	v_or_b32_sdwa v27, v29, v37 dst_sel:DWORD dst_unused:UNUSED_PAD src0_sel:WORD_0 src1_sel:DWORD
	v_lshlrev_b16 v41, 8, v41
	v_cndmask_b32_e64 v42, 17, v42, s6
	v_cmp_ne_u32_e64 s6, 16, v19
	v_bfe_u32 v29, v11, 17, 1
	v_cndmask_b32_e32 v12, v27, v12, vcc_lo
	v_lshrrev_b32_e32 v27, 24, v17
	v_lshlrev_b16 v42, 8, v42
	v_cndmask_b32_e64 v44, 17, v21, s6
	v_cmp_ne_u32_e64 s6, 18, v19
	v_lshrrev_b32_e32 v37, 16, v18
	v_lshrrev_b32_e32 v40, 16, v12
	v_or_b32_sdwa v39, v44, v41 dst_sel:DWORD dst_unused:UNUSED_PAD src0_sel:BYTE_0 src1_sel:DWORD
	v_cndmask_b32_e64 v43, 17, v43, s6
	v_cmp_ne_u32_e64 s6, 10, v19
	v_add_nc_u32_e32 v19, v19, v29
	v_lshrrev_b32_e32 v29, 16, v17
	v_or_b32_sdwa v41, v43, v42 dst_sel:WORD_1 dst_unused:UNUSED_PAD src0_sel:BYTE_0 src1_sel:DWORD
	v_cndmask_b32_e64 v38, 17, v38, s6
	v_cmp_ne_u32_e64 s6, 5, v19
	v_or_b32_sdwa v25, v39, v41 dst_sel:DWORD dst_unused:UNUSED_PAD src0_sel:WORD_0 src1_sel:DWORD
	v_or_b32_sdwa v30, v38, v30 dst_sel:WORD_1 dst_unused:UNUSED_PAD src0_sel:BYTE_0 src1_sel:DWORD
	v_cndmask_b32_e32 v21, v25, v21, vcc_lo
	v_or_b32_sdwa v28, v28, v30 dst_sel:DWORD dst_unused:UNUSED_PAD src0_sel:WORD_0 src1_sel:DWORD
	v_lshrrev_b32_e32 v41, 8, v21
	v_cndmask_b32_e32 v20, v28, v20, vcc_lo
	v_cmp_ne_u32_e32 vcc_lo, 0, v19
	v_lshrrev_b32_e32 v28, 24, v18
	v_lshrrev_b32_e32 v42, 24, v21
	;; [unrolled: 1-line block ×3, first 2 shown]
	v_cndmask_b32_e32 v25, 18, v18, vcc_lo
	v_cmp_ne_u32_e32 vcc_lo, 1, v19
	v_cndmask_b32_e32 v24, 18, v24, vcc_lo
	v_cmp_ne_u32_e32 vcc_lo, 21, v19
	v_lshlrev_b16 v24, 8, v24
	v_cndmask_b32_e32 v26, 18, v26, vcc_lo
	v_cmp_ne_u32_e32 vcc_lo, 23, v19
	v_or_b32_sdwa v24, v25, v24 dst_sel:DWORD dst_unused:UNUSED_PAD src0_sel:BYTE_0 src1_sel:DWORD
	v_lshlrev_b16 v26, 8, v26
	v_cndmask_b32_e32 v27, 18, v27, vcc_lo
	v_cmp_ne_u32_e32 vcc_lo, 20, v19
	v_lshrrev_b32_e32 v25, 24, v22
	v_lshlrev_b16 v27, 8, v27
	v_cndmask_b32_e32 v30, 18, v17, vcc_lo
	v_cmp_ne_u32_e32 vcc_lo, 22, v19
	v_or_b32_sdwa v26, v30, v26 dst_sel:DWORD dst_unused:UNUSED_PAD src0_sel:BYTE_0 src1_sel:DWORD
	v_cndmask_b32_e32 v29, 18, v29, vcc_lo
	v_cmp_ne_u32_e32 vcc_lo, 3, v19
	v_lshrrev_b32_e32 v30, 16, v22
	v_or_b32_sdwa v27, v29, v27 dst_sel:WORD_1 dst_unused:UNUSED_PAD src0_sel:BYTE_0 src1_sel:DWORD
	v_cndmask_b32_e32 v28, 18, v28, vcc_lo
	v_cmp_ne_u32_e32 vcc_lo, 2, v19
	v_or_b32_sdwa v26, v26, v27 dst_sel:DWORD dst_unused:UNUSED_PAD src0_sel:WORD_0 src1_sel:DWORD
	v_lshlrev_b16 v28, 8, v28
	v_cndmask_b32_e32 v29, 18, v37, vcc_lo
	v_cmp_eq_u32_e32 vcc_lo, 0, v23
	v_lshrrev_b32_e32 v23, 8, v22
	v_lshrrev_b32_e32 v37, 24, v20
	v_or_b32_sdwa v27, v29, v28 dst_sel:WORD_1 dst_unused:UNUSED_PAD src0_sel:BYTE_0 src1_sel:DWORD
	v_lshrrev_b32_e32 v29, 8, v20
	v_cndmask_b32_e64 v23, 18, v23, s6
	v_cmp_ne_u32_e64 s6, 7, v19
	v_cndmask_b32_e32 v17, v26, v17, vcc_lo
	v_or_b32_sdwa v24, v24, v27 dst_sel:DWORD dst_unused:UNUSED_PAD src0_sel:WORD_0 src1_sel:DWORD
	v_lshlrev_b16 v23, 8, v23
	v_cndmask_b32_e64 v25, 18, v25, s6
	v_cmp_ne_u32_e64 s6, 4, v19
	v_cndmask_b32_e32 v18, v24, v18, vcc_lo
	v_lshrrev_b32_e32 v26, 8, v17
	v_lshlrev_b16 v25, 8, v25
	v_cndmask_b32_e64 v28, 18, v22, s6
	v_cmp_ne_u32_e64 s6, 9, v19
	v_lshrrev_b32_e32 v24, 8, v18
	v_or_b32_sdwa v23, v28, v23 dst_sel:DWORD dst_unused:UNUSED_PAD src0_sel:BYTE_0 src1_sel:DWORD
	v_cndmask_b32_e64 v29, 18, v29, s6
	v_cmp_ne_u32_e64 s6, 6, v19
	v_lshlrev_b16 v29, 8, v29
	v_cndmask_b32_e64 v30, 18, v30, s6
	v_cmp_ne_u32_e64 s6, 8, v19
	v_or_b32_sdwa v25, v30, v25 dst_sel:WORD_1 dst_unused:UNUSED_PAD src0_sel:BYTE_0 src1_sel:DWORD
	v_cndmask_b32_e64 v38, 18, v20, s6
	v_cmp_ne_u32_e64 s6, 11, v19
	v_or_b32_sdwa v23, v23, v25 dst_sel:DWORD dst_unused:UNUSED_PAD src0_sel:WORD_0 src1_sel:DWORD
	v_or_b32_sdwa v28, v38, v29 dst_sel:DWORD dst_unused:UNUSED_PAD src0_sel:BYTE_0 src1_sel:DWORD
	v_cndmask_b32_e64 v37, 18, v37, s6
	v_lshrrev_b32_e32 v29, 8, v12
	v_cmp_ne_u32_e64 s6, 13, v19
	v_lshrrev_b32_e32 v38, 16, v20
	v_cndmask_b32_e32 v22, v23, v22, vcc_lo
	v_lshlrev_b16 v30, 8, v37
	v_lshrrev_b32_e32 v37, 24, v12
	v_cndmask_b32_e64 v29, 18, v29, s6
	v_cmp_ne_u32_e64 s6, 15, v19
	v_and_b32_e32 v23, 0x80000, v11
	v_lshlrev_b16 v29, 8, v29
	v_cndmask_b32_e64 v37, 18, v37, s6
	v_cmp_ne_u32_e64 s6, 12, v19
	v_lshlrev_b16 v37, 8, v37
	v_cndmask_b32_e64 v39, 18, v12, s6
	v_cmp_ne_u32_e64 s6, 14, v19
	v_or_b32_sdwa v29, v39, v29 dst_sel:DWORD dst_unused:UNUSED_PAD src0_sel:BYTE_0 src1_sel:DWORD
	v_cndmask_b32_e64 v40, 18, v40, s6
	v_cmp_ne_u32_e64 s6, 17, v19
	v_or_b32_sdwa v37, v40, v37 dst_sel:WORD_1 dst_unused:UNUSED_PAD src0_sel:BYTE_0 src1_sel:DWORD
	v_cndmask_b32_e64 v41, 18, v41, s6
	v_cmp_ne_u32_e64 s6, 19, v19
	v_or_b32_sdwa v27, v29, v37 dst_sel:DWORD dst_unused:UNUSED_PAD src0_sel:WORD_0 src1_sel:DWORD
	v_lshlrev_b16 v41, 8, v41
	v_cndmask_b32_e64 v42, 18, v42, s6
	v_cmp_ne_u32_e64 s6, 16, v19
	v_bfe_u32 v29, v11, 18, 1
	v_cndmask_b32_e32 v12, v27, v12, vcc_lo
	v_lshrrev_b32_e32 v27, 24, v17
	v_lshlrev_b16 v42, 8, v42
	v_cndmask_b32_e64 v44, 18, v21, s6
	v_cmp_ne_u32_e64 s6, 18, v19
	v_lshrrev_b32_e32 v37, 16, v18
	v_lshrrev_b32_e32 v40, 16, v12
	v_or_b32_sdwa v39, v44, v41 dst_sel:DWORD dst_unused:UNUSED_PAD src0_sel:BYTE_0 src1_sel:DWORD
	v_cndmask_b32_e64 v43, 18, v43, s6
	v_cmp_ne_u32_e64 s6, 10, v19
	v_add_nc_u32_e32 v19, v19, v29
	v_lshrrev_b32_e32 v29, 16, v17
	v_or_b32_sdwa v41, v43, v42 dst_sel:WORD_1 dst_unused:UNUSED_PAD src0_sel:BYTE_0 src1_sel:DWORD
	v_cndmask_b32_e64 v38, 18, v38, s6
	v_cmp_ne_u32_e64 s6, 5, v19
	v_or_b32_sdwa v25, v39, v41 dst_sel:DWORD dst_unused:UNUSED_PAD src0_sel:WORD_0 src1_sel:DWORD
	v_or_b32_sdwa v30, v38, v30 dst_sel:WORD_1 dst_unused:UNUSED_PAD src0_sel:BYTE_0 src1_sel:DWORD
	v_cndmask_b32_e32 v21, v25, v21, vcc_lo
	v_or_b32_sdwa v28, v28, v30 dst_sel:DWORD dst_unused:UNUSED_PAD src0_sel:WORD_0 src1_sel:DWORD
	v_lshrrev_b32_e32 v41, 8, v21
	v_cndmask_b32_e32 v20, v28, v20, vcc_lo
	v_cmp_ne_u32_e32 vcc_lo, 0, v19
	v_lshrrev_b32_e32 v28, 24, v18
	v_lshrrev_b32_e32 v42, 24, v21
	;; [unrolled: 1-line block ×3, first 2 shown]
	v_cndmask_b32_e32 v25, 19, v18, vcc_lo
	v_cmp_ne_u32_e32 vcc_lo, 1, v19
	v_cndmask_b32_e32 v24, 19, v24, vcc_lo
	v_cmp_ne_u32_e32 vcc_lo, 21, v19
	v_lshlrev_b16 v24, 8, v24
	v_cndmask_b32_e32 v26, 19, v26, vcc_lo
	v_cmp_ne_u32_e32 vcc_lo, 23, v19
	v_or_b32_sdwa v24, v25, v24 dst_sel:DWORD dst_unused:UNUSED_PAD src0_sel:BYTE_0 src1_sel:DWORD
	v_lshlrev_b16 v26, 8, v26
	v_cndmask_b32_e32 v27, 19, v27, vcc_lo
	v_cmp_ne_u32_e32 vcc_lo, 20, v19
	v_lshrrev_b32_e32 v25, 24, v22
	v_lshlrev_b16 v27, 8, v27
	v_cndmask_b32_e32 v30, 19, v17, vcc_lo
	v_cmp_ne_u32_e32 vcc_lo, 22, v19
	v_or_b32_sdwa v26, v30, v26 dst_sel:DWORD dst_unused:UNUSED_PAD src0_sel:BYTE_0 src1_sel:DWORD
	v_cndmask_b32_e32 v29, 19, v29, vcc_lo
	v_cmp_ne_u32_e32 vcc_lo, 3, v19
	v_lshrrev_b32_e32 v30, 16, v22
	v_or_b32_sdwa v27, v29, v27 dst_sel:WORD_1 dst_unused:UNUSED_PAD src0_sel:BYTE_0 src1_sel:DWORD
	v_cndmask_b32_e32 v28, 19, v28, vcc_lo
	v_cmp_ne_u32_e32 vcc_lo, 2, v19
	v_or_b32_sdwa v26, v26, v27 dst_sel:DWORD dst_unused:UNUSED_PAD src0_sel:WORD_0 src1_sel:DWORD
	v_lshlrev_b16 v28, 8, v28
	v_cndmask_b32_e32 v29, 19, v37, vcc_lo
	v_cmp_eq_u32_e32 vcc_lo, 0, v23
	v_lshrrev_b32_e32 v23, 8, v22
	v_lshrrev_b32_e32 v37, 24, v20
	v_or_b32_sdwa v27, v29, v28 dst_sel:WORD_1 dst_unused:UNUSED_PAD src0_sel:BYTE_0 src1_sel:DWORD
	v_lshrrev_b32_e32 v29, 8, v20
	v_cndmask_b32_e64 v23, 19, v23, s6
	v_cmp_ne_u32_e64 s6, 7, v19
	v_cndmask_b32_e32 v17, v26, v17, vcc_lo
	v_or_b32_sdwa v24, v24, v27 dst_sel:DWORD dst_unused:UNUSED_PAD src0_sel:WORD_0 src1_sel:DWORD
	v_lshlrev_b16 v23, 8, v23
	v_cndmask_b32_e64 v25, 19, v25, s6
	v_cmp_ne_u32_e64 s6, 4, v19
	v_cndmask_b32_e32 v18, v24, v18, vcc_lo
	v_lshrrev_b32_e32 v26, 8, v17
	v_lshlrev_b16 v25, 8, v25
	v_cndmask_b32_e64 v28, 19, v22, s6
	v_cmp_ne_u32_e64 s6, 9, v19
	v_lshrrev_b32_e32 v24, 8, v18
	v_or_b32_sdwa v23, v28, v23 dst_sel:DWORD dst_unused:UNUSED_PAD src0_sel:BYTE_0 src1_sel:DWORD
	v_cndmask_b32_e64 v29, 19, v29, s6
	v_cmp_ne_u32_e64 s6, 6, v19
	v_lshlrev_b16 v29, 8, v29
	v_cndmask_b32_e64 v30, 19, v30, s6
	v_cmp_ne_u32_e64 s6, 8, v19
	v_or_b32_sdwa v25, v30, v25 dst_sel:WORD_1 dst_unused:UNUSED_PAD src0_sel:BYTE_0 src1_sel:DWORD
	v_cndmask_b32_e64 v38, 19, v20, s6
	v_cmp_ne_u32_e64 s6, 11, v19
	v_or_b32_sdwa v23, v23, v25 dst_sel:DWORD dst_unused:UNUSED_PAD src0_sel:WORD_0 src1_sel:DWORD
	v_or_b32_sdwa v28, v38, v29 dst_sel:DWORD dst_unused:UNUSED_PAD src0_sel:BYTE_0 src1_sel:DWORD
	v_cndmask_b32_e64 v37, 19, v37, s6
	v_lshrrev_b32_e32 v29, 8, v12
	v_cmp_ne_u32_e64 s6, 13, v19
	v_lshrrev_b32_e32 v38, 16, v20
	v_cndmask_b32_e32 v22, v23, v22, vcc_lo
	v_lshlrev_b16 v30, 8, v37
	v_lshrrev_b32_e32 v37, 24, v12
	v_cndmask_b32_e64 v29, 19, v29, s6
	v_cmp_ne_u32_e64 s6, 15, v19
	v_and_b32_e32 v23, 0x100000, v11
	v_lshlrev_b16 v29, 8, v29
	v_cndmask_b32_e64 v37, 19, v37, s6
	v_cmp_ne_u32_e64 s6, 12, v19
	v_lshlrev_b16 v37, 8, v37
	v_cndmask_b32_e64 v39, 19, v12, s6
	v_cmp_ne_u32_e64 s6, 14, v19
	v_or_b32_sdwa v29, v39, v29 dst_sel:DWORD dst_unused:UNUSED_PAD src0_sel:BYTE_0 src1_sel:DWORD
	v_cndmask_b32_e64 v40, 19, v40, s6
	v_cmp_ne_u32_e64 s6, 17, v19
	v_or_b32_sdwa v37, v40, v37 dst_sel:WORD_1 dst_unused:UNUSED_PAD src0_sel:BYTE_0 src1_sel:DWORD
	v_cndmask_b32_e64 v41, 19, v41, s6
	v_cmp_ne_u32_e64 s6, 19, v19
	v_or_b32_sdwa v27, v29, v37 dst_sel:DWORD dst_unused:UNUSED_PAD src0_sel:WORD_0 src1_sel:DWORD
	v_lshlrev_b16 v41, 8, v41
	v_cndmask_b32_e64 v42, 19, v42, s6
	v_cmp_ne_u32_e64 s6, 16, v19
	v_bfe_u32 v29, v11, 19, 1
	v_cndmask_b32_e32 v12, v27, v12, vcc_lo
	v_lshrrev_b32_e32 v27, 24, v17
	v_lshlrev_b16 v42, 8, v42
	v_cndmask_b32_e64 v44, 19, v21, s6
	v_cmp_ne_u32_e64 s6, 18, v19
	v_lshrrev_b32_e32 v37, 16, v18
	v_lshrrev_b32_e32 v40, 16, v12
	v_or_b32_sdwa v39, v44, v41 dst_sel:DWORD dst_unused:UNUSED_PAD src0_sel:BYTE_0 src1_sel:DWORD
	v_cndmask_b32_e64 v43, 19, v43, s6
	v_cmp_ne_u32_e64 s6, 10, v19
	v_add_nc_u32_e32 v19, v19, v29
	v_lshrrev_b32_e32 v29, 16, v17
	v_or_b32_sdwa v41, v43, v42 dst_sel:WORD_1 dst_unused:UNUSED_PAD src0_sel:BYTE_0 src1_sel:DWORD
	v_cndmask_b32_e64 v38, 19, v38, s6
	v_cmp_ne_u32_e64 s6, 5, v19
	v_or_b32_sdwa v25, v39, v41 dst_sel:DWORD dst_unused:UNUSED_PAD src0_sel:WORD_0 src1_sel:DWORD
	v_or_b32_sdwa v30, v38, v30 dst_sel:WORD_1 dst_unused:UNUSED_PAD src0_sel:BYTE_0 src1_sel:DWORD
	v_cndmask_b32_e32 v21, v25, v21, vcc_lo
	v_or_b32_sdwa v28, v28, v30 dst_sel:DWORD dst_unused:UNUSED_PAD src0_sel:WORD_0 src1_sel:DWORD
	v_lshrrev_b32_e32 v41, 8, v21
	v_cndmask_b32_e32 v20, v28, v20, vcc_lo
	v_cmp_ne_u32_e32 vcc_lo, 0, v19
	v_lshrrev_b32_e32 v28, 24, v18
	v_lshrrev_b32_e32 v42, 24, v21
	;; [unrolled: 1-line block ×3, first 2 shown]
	v_cndmask_b32_e32 v25, 20, v18, vcc_lo
	v_cmp_ne_u32_e32 vcc_lo, 1, v19
	v_cndmask_b32_e32 v24, 20, v24, vcc_lo
	v_cmp_ne_u32_e32 vcc_lo, 21, v19
	v_lshlrev_b16 v24, 8, v24
	v_cndmask_b32_e32 v26, 20, v26, vcc_lo
	v_cmp_ne_u32_e32 vcc_lo, 23, v19
	v_or_b32_sdwa v24, v25, v24 dst_sel:DWORD dst_unused:UNUSED_PAD src0_sel:BYTE_0 src1_sel:DWORD
	v_lshlrev_b16 v26, 8, v26
	v_cndmask_b32_e32 v27, 20, v27, vcc_lo
	v_cmp_ne_u32_e32 vcc_lo, 20, v19
	v_lshrrev_b32_e32 v25, 24, v22
	v_lshlrev_b16 v27, 8, v27
	v_cndmask_b32_e32 v30, 20, v17, vcc_lo
	v_cmp_ne_u32_e32 vcc_lo, 22, v19
	v_or_b32_sdwa v26, v30, v26 dst_sel:DWORD dst_unused:UNUSED_PAD src0_sel:BYTE_0 src1_sel:DWORD
	v_cndmask_b32_e32 v29, 20, v29, vcc_lo
	v_cmp_ne_u32_e32 vcc_lo, 3, v19
	v_lshrrev_b32_e32 v30, 16, v22
	v_or_b32_sdwa v27, v29, v27 dst_sel:WORD_1 dst_unused:UNUSED_PAD src0_sel:BYTE_0 src1_sel:DWORD
	v_cndmask_b32_e32 v28, 20, v28, vcc_lo
	v_cmp_ne_u32_e32 vcc_lo, 2, v19
	v_or_b32_sdwa v26, v26, v27 dst_sel:DWORD dst_unused:UNUSED_PAD src0_sel:WORD_0 src1_sel:DWORD
	v_lshlrev_b16 v28, 8, v28
	v_cndmask_b32_e32 v29, 20, v37, vcc_lo
	v_cmp_eq_u32_e32 vcc_lo, 0, v23
	v_lshrrev_b32_e32 v23, 8, v22
	v_lshrrev_b32_e32 v37, 24, v20
	v_or_b32_sdwa v27, v29, v28 dst_sel:WORD_1 dst_unused:UNUSED_PAD src0_sel:BYTE_0 src1_sel:DWORD
	v_lshrrev_b32_e32 v29, 8, v20
	v_cndmask_b32_e64 v23, 20, v23, s6
	v_cmp_ne_u32_e64 s6, 7, v19
	v_cndmask_b32_e32 v17, v26, v17, vcc_lo
	v_or_b32_sdwa v24, v24, v27 dst_sel:DWORD dst_unused:UNUSED_PAD src0_sel:WORD_0 src1_sel:DWORD
	v_lshlrev_b16 v23, 8, v23
	v_cndmask_b32_e64 v25, 20, v25, s6
	v_cmp_ne_u32_e64 s6, 4, v19
	v_cndmask_b32_e32 v18, v24, v18, vcc_lo
	v_lshrrev_b32_e32 v26, 8, v17
	v_lshlrev_b16 v25, 8, v25
	v_cndmask_b32_e64 v28, 20, v22, s6
	v_cmp_ne_u32_e64 s6, 9, v19
	v_lshrrev_b32_e32 v24, 8, v18
	v_or_b32_sdwa v23, v28, v23 dst_sel:DWORD dst_unused:UNUSED_PAD src0_sel:BYTE_0 src1_sel:DWORD
	v_cndmask_b32_e64 v29, 20, v29, s6
	v_cmp_ne_u32_e64 s6, 6, v19
	v_lshlrev_b16 v29, 8, v29
	v_cndmask_b32_e64 v30, 20, v30, s6
	v_cmp_ne_u32_e64 s6, 8, v19
	v_or_b32_sdwa v25, v30, v25 dst_sel:WORD_1 dst_unused:UNUSED_PAD src0_sel:BYTE_0 src1_sel:DWORD
	v_cndmask_b32_e64 v38, 20, v20, s6
	v_cmp_ne_u32_e64 s6, 11, v19
	v_or_b32_sdwa v23, v23, v25 dst_sel:DWORD dst_unused:UNUSED_PAD src0_sel:WORD_0 src1_sel:DWORD
	v_or_b32_sdwa v28, v38, v29 dst_sel:DWORD dst_unused:UNUSED_PAD src0_sel:BYTE_0 src1_sel:DWORD
	v_cndmask_b32_e64 v37, 20, v37, s6
	v_lshrrev_b32_e32 v29, 8, v12
	v_cmp_ne_u32_e64 s6, 13, v19
	v_lshrrev_b32_e32 v38, 16, v20
	v_cndmask_b32_e32 v22, v23, v22, vcc_lo
	v_lshlrev_b16 v30, 8, v37
	v_lshrrev_b32_e32 v37, 24, v12
	v_cndmask_b32_e64 v29, 20, v29, s6
	v_cmp_ne_u32_e64 s6, 15, v19
	v_and_b32_e32 v23, 0x200000, v11
	v_lshlrev_b16 v29, 8, v29
	v_cndmask_b32_e64 v37, 20, v37, s6
	v_cmp_ne_u32_e64 s6, 12, v19
	v_lshlrev_b16 v37, 8, v37
	v_cndmask_b32_e64 v39, 20, v12, s6
	v_cmp_ne_u32_e64 s6, 14, v19
	v_or_b32_sdwa v29, v39, v29 dst_sel:DWORD dst_unused:UNUSED_PAD src0_sel:BYTE_0 src1_sel:DWORD
	v_cndmask_b32_e64 v40, 20, v40, s6
	v_cmp_ne_u32_e64 s6, 17, v19
	v_or_b32_sdwa v37, v40, v37 dst_sel:WORD_1 dst_unused:UNUSED_PAD src0_sel:BYTE_0 src1_sel:DWORD
	v_cndmask_b32_e64 v41, 20, v41, s6
	v_cmp_ne_u32_e64 s6, 19, v19
	v_or_b32_sdwa v27, v29, v37 dst_sel:DWORD dst_unused:UNUSED_PAD src0_sel:WORD_0 src1_sel:DWORD
	v_lshlrev_b16 v41, 8, v41
	v_cndmask_b32_e64 v42, 20, v42, s6
	v_cmp_ne_u32_e64 s6, 16, v19
	v_bfe_u32 v29, v11, 20, 1
	v_cndmask_b32_e32 v12, v27, v12, vcc_lo
	v_lshrrev_b32_e32 v27, 24, v17
	v_lshlrev_b16 v42, 8, v42
	v_cndmask_b32_e64 v44, 20, v21, s6
	v_cmp_ne_u32_e64 s6, 18, v19
	v_lshrrev_b32_e32 v37, 16, v18
	v_lshrrev_b32_e32 v40, 16, v12
	v_or_b32_sdwa v39, v44, v41 dst_sel:DWORD dst_unused:UNUSED_PAD src0_sel:BYTE_0 src1_sel:DWORD
	v_cndmask_b32_e64 v43, 20, v43, s6
	v_cmp_ne_u32_e64 s6, 10, v19
	v_add_nc_u32_e32 v19, v19, v29
	v_lshrrev_b32_e32 v29, 16, v17
	v_or_b32_sdwa v41, v43, v42 dst_sel:WORD_1 dst_unused:UNUSED_PAD src0_sel:BYTE_0 src1_sel:DWORD
	v_cndmask_b32_e64 v38, 20, v38, s6
	v_cmp_ne_u32_e64 s6, 5, v19
	v_or_b32_sdwa v25, v39, v41 dst_sel:DWORD dst_unused:UNUSED_PAD src0_sel:WORD_0 src1_sel:DWORD
	v_or_b32_sdwa v30, v38, v30 dst_sel:WORD_1 dst_unused:UNUSED_PAD src0_sel:BYTE_0 src1_sel:DWORD
	v_cndmask_b32_e32 v21, v25, v21, vcc_lo
	v_or_b32_sdwa v28, v28, v30 dst_sel:DWORD dst_unused:UNUSED_PAD src0_sel:WORD_0 src1_sel:DWORD
	v_lshrrev_b32_e32 v41, 8, v21
	v_cndmask_b32_e32 v20, v28, v20, vcc_lo
	v_cmp_ne_u32_e32 vcc_lo, 0, v19
	v_lshrrev_b32_e32 v28, 24, v18
	v_lshrrev_b32_e32 v42, 24, v21
	;; [unrolled: 1-line block ×4, first 2 shown]
	v_cndmask_b32_e32 v25, 21, v18, vcc_lo
	v_cmp_ne_u32_e32 vcc_lo, 1, v19
	v_cndmask_b32_e32 v24, 21, v24, vcc_lo
	v_cmp_ne_u32_e32 vcc_lo, 21, v19
	v_lshlrev_b16 v24, 8, v24
	v_cndmask_b32_e32 v26, 21, v26, vcc_lo
	v_cmp_ne_u32_e32 vcc_lo, 23, v19
	v_or_b32_sdwa v24, v25, v24 dst_sel:DWORD dst_unused:UNUSED_PAD src0_sel:BYTE_0 src1_sel:DWORD
	v_lshlrev_b16 v26, 8, v26
	v_cndmask_b32_e32 v27, 21, v27, vcc_lo
	v_cmp_ne_u32_e32 vcc_lo, 20, v19
	v_lshrrev_b32_e32 v25, 24, v22
	v_lshlrev_b16 v27, 8, v27
	v_cndmask_b32_e32 v30, 21, v17, vcc_lo
	v_cmp_ne_u32_e32 vcc_lo, 22, v19
	v_or_b32_sdwa v26, v30, v26 dst_sel:DWORD dst_unused:UNUSED_PAD src0_sel:BYTE_0 src1_sel:DWORD
	v_cndmask_b32_e32 v29, 21, v29, vcc_lo
	v_cmp_ne_u32_e32 vcc_lo, 3, v19
	v_lshrrev_b32_e32 v30, 8, v12
	v_or_b32_sdwa v27, v29, v27 dst_sel:WORD_1 dst_unused:UNUSED_PAD src0_sel:BYTE_0 src1_sel:DWORD
	v_cndmask_b32_e32 v28, 21, v28, vcc_lo
	v_cmp_ne_u32_e32 vcc_lo, 2, v19
	v_or_b32_sdwa v26, v26, v27 dst_sel:DWORD dst_unused:UNUSED_PAD src0_sel:WORD_0 src1_sel:DWORD
	v_lshlrev_b16 v28, 8, v28
	v_cndmask_b32_e32 v29, 21, v37, vcc_lo
	v_cmp_eq_u32_e32 vcc_lo, 0, v23
	v_lshrrev_b32_e32 v23, 8, v22
	v_lshrrev_b32_e32 v37, 24, v12
	v_or_b32_sdwa v27, v29, v28 dst_sel:WORD_1 dst_unused:UNUSED_PAD src0_sel:BYTE_0 src1_sel:DWORD
	v_lshrrev_b32_e32 v28, 16, v22
	v_cndmask_b32_e64 v23, 21, v23, s6
	v_cmp_ne_u32_e64 s6, 7, v19
	v_cndmask_b32_e32 v17, v26, v17, vcc_lo
	v_or_b32_sdwa v24, v24, v27 dst_sel:DWORD dst_unused:UNUSED_PAD src0_sel:WORD_0 src1_sel:DWORD
	v_lshrrev_b32_e32 v27, 8, v20
	v_lshlrev_b16 v23, 8, v23
	v_cndmask_b32_e64 v25, 21, v25, s6
	v_cmp_ne_u32_e64 s6, 4, v19
	v_bfe_u32 v26, v11, 21, 1
	v_cndmask_b32_e32 v18, v24, v18, vcc_lo
	v_lshlrev_b16 v25, 8, v25
	v_cndmask_b32_e64 v29, 21, v22, s6
	v_cmp_ne_u32_e64 s6, 6, v19
	v_or_b32_sdwa v23, v29, v23 dst_sel:DWORD dst_unused:UNUSED_PAD src0_sel:BYTE_0 src1_sel:DWORD
	v_cndmask_b32_e64 v28, 21, v28, s6
	v_cmp_ne_u32_e64 s6, 9, v19
	v_lshrrev_b32_e32 v29, 24, v20
	v_or_b32_sdwa v25, v28, v25 dst_sel:WORD_1 dst_unused:UNUSED_PAD src0_sel:BYTE_0 src1_sel:DWORD
	v_cndmask_b32_e64 v27, 21, v27, s6
	v_cmp_ne_u32_e64 s6, 11, v19
	v_or_b32_sdwa v23, v23, v25 dst_sel:DWORD dst_unused:UNUSED_PAD src0_sel:WORD_0 src1_sel:DWORD
	v_lshlrev_b16 v27, 8, v27
	v_cndmask_b32_e64 v28, 21, v29, s6
	v_cmp_ne_u32_e64 s6, 8, v19
	v_cndmask_b32_e32 v22, v23, v22, vcc_lo
	v_lshlrev_b16 v28, 8, v28
	v_cndmask_b32_e64 v29, 21, v20, s6
	v_cmp_ne_u32_e64 s6, 13, v19
	v_or_b32_sdwa v25, v29, v27 dst_sel:DWORD dst_unused:UNUSED_PAD src0_sel:BYTE_0 src1_sel:DWORD
	v_cndmask_b32_e64 v30, 21, v30, s6
	v_cmp_ne_u32_e64 s6, 15, v19
	v_lshlrev_b16 v30, 8, v30
	v_cndmask_b32_e64 v37, 21, v37, s6
	v_cmp_ne_u32_e64 s6, 12, v19
	v_lshlrev_b16 v37, 8, v37
	v_cndmask_b32_e64 v39, 21, v12, s6
	v_cmp_ne_u32_e64 s6, 14, v19
	v_or_b32_sdwa v30, v39, v30 dst_sel:DWORD dst_unused:UNUSED_PAD src0_sel:BYTE_0 src1_sel:DWORD
	v_cndmask_b32_e64 v40, 21, v40, s6
	v_cmp_ne_u32_e64 s6, 17, v19
	v_or_b32_sdwa v37, v40, v37 dst_sel:WORD_1 dst_unused:UNUSED_PAD src0_sel:BYTE_0 src1_sel:DWORD
	v_cndmask_b32_e64 v41, 21, v41, s6
	v_cmp_ne_u32_e64 s6, 19, v19
	v_lshlrev_b16 v41, 8, v41
	v_cndmask_b32_e64 v42, 21, v42, s6
	v_cmp_ne_u32_e64 s6, 16, v19
	v_lshlrev_b16 v42, 8, v42
	v_cndmask_b32_e64 v44, 21, v21, s6
	v_cmp_ne_u32_e64 s6, 18, v19
	v_or_b32_sdwa v39, v44, v41 dst_sel:DWORD dst_unused:UNUSED_PAD src0_sel:BYTE_0 src1_sel:DWORD
	v_cndmask_b32_e64 v43, 21, v43, s6
	v_cmp_ne_u32_e64 s6, 10, v19
	v_add_nc_u32_e32 v19, v19, v26
	v_lshrrev_b32_e32 v41, 24, v17
	v_or_b32_sdwa v40, v43, v42 dst_sel:WORD_1 dst_unused:UNUSED_PAD src0_sel:BYTE_0 src1_sel:DWORD
	v_cndmask_b32_e64 v38, 21, v38, s6
	v_lshrrev_b32_e32 v42, 16, v17
	v_or_b32_sdwa v29, v39, v40 dst_sel:DWORD dst_unused:UNUSED_PAD src0_sel:WORD_0 src1_sel:DWORD
	v_or_b32_sdwa v27, v38, v28 dst_sel:WORD_1 dst_unused:UNUSED_PAD src0_sel:BYTE_0 src1_sel:DWORD
	v_or_b32_sdwa v28, v30, v37 dst_sel:DWORD dst_unused:UNUSED_PAD src0_sel:WORD_0 src1_sel:DWORD
	v_lshrrev_b32_e32 v40, 8, v17
	v_cndmask_b32_e32 v21, v29, v21, vcc_lo
	v_or_b32_sdwa v24, v25, v27 dst_sel:DWORD dst_unused:UNUSED_PAD src0_sel:WORD_0 src1_sel:DWORD
	v_cndmask_b32_e32 v12, v28, v12, vcc_lo
	v_lshrrev_b32_e32 v25, 8, v18
	v_lshrrev_b32_e32 v28, 8, v22
	;; [unrolled: 1-line block ×3, first 2 shown]
	v_cndmask_b32_e32 v20, v24, v20, vcc_lo
	v_cmp_ne_u32_e32 vcc_lo, 1, v19
	v_lshrrev_b32_e32 v24, 24, v18
	v_lshrrev_b32_e32 v30, 8, v12
	;; [unrolled: 1-line block ×4, first 2 shown]
	v_cndmask_b32_e32 v23, 22, v25, vcc_lo
	v_cmp_ne_u32_e32 vcc_lo, 3, v19
	v_lshrrev_b32_e32 v25, 16, v18
	v_and_b32_e32 v27, 0x400000, v11
	v_lshlrev_b16 v23, 8, v23
	v_cndmask_b32_e32 v24, 22, v24, vcc_lo
	v_cmp_ne_u32_e32 vcc_lo, 0, v19
	v_lshlrev_b16 v24, 8, v24
	v_cndmask_b32_e32 v26, 22, v18, vcc_lo
	v_cmp_ne_u32_e32 vcc_lo, 2, v19
	v_or_b32_sdwa v23, v26, v23 dst_sel:DWORD dst_unused:UNUSED_PAD src0_sel:BYTE_0 src1_sel:DWORD
	v_cndmask_b32_e32 v25, 22, v25, vcc_lo
	v_cmp_ne_u32_e32 vcc_lo, 5, v19
	v_lshrrev_b32_e32 v26, 24, v22
	v_or_b32_sdwa v24, v25, v24 dst_sel:WORD_1 dst_unused:UNUSED_PAD src0_sel:BYTE_0 src1_sel:DWORD
	v_cndmask_b32_e32 v25, 22, v28, vcc_lo
	v_cmp_ne_u32_e32 vcc_lo, 7, v19
	v_lshrrev_b32_e32 v28, 16, v22
	v_or_b32_sdwa v23, v23, v24 dst_sel:DWORD dst_unused:UNUSED_PAD src0_sel:WORD_0 src1_sel:DWORD
	v_lshlrev_b16 v25, 8, v25
	v_cndmask_b32_e32 v26, 22, v26, vcc_lo
	v_cmp_ne_u32_e32 vcc_lo, 4, v19
	v_lshrrev_b32_e32 v24, 8, v20
	v_lshlrev_b16 v26, 8, v26
	v_cndmask_b32_e32 v29, 22, v22, vcc_lo
	v_cmp_ne_u32_e32 vcc_lo, 6, v19
	v_or_b32_sdwa v25, v29, v25 dst_sel:DWORD dst_unused:UNUSED_PAD src0_sel:BYTE_0 src1_sel:DWORD
	v_cndmask_b32_e32 v28, 22, v28, vcc_lo
	v_cmp_ne_u32_e32 vcc_lo, 9, v19
	v_lshrrev_b32_e32 v29, 24, v20
	v_or_b32_sdwa v26, v28, v26 dst_sel:WORD_1 dst_unused:UNUSED_PAD src0_sel:BYTE_0 src1_sel:DWORD
	v_cndmask_b32_e32 v24, 22, v24, vcc_lo
	v_cmp_ne_u32_e32 vcc_lo, 11, v19
	v_or_b32_sdwa v25, v25, v26 dst_sel:DWORD dst_unused:UNUSED_PAD src0_sel:WORD_0 src1_sel:DWORD
	v_lshlrev_b16 v24, 8, v24
	v_cndmask_b32_e32 v28, 22, v29, vcc_lo
	v_cmp_ne_u32_e32 vcc_lo, 8, v19
	v_lshlrev_b16 v28, 8, v28
	v_cndmask_b32_e32 v29, 22, v20, vcc_lo
	v_cmp_ne_u32_e32 vcc_lo, 13, v19
	v_or_b32_sdwa v24, v29, v24 dst_sel:DWORD dst_unused:UNUSED_PAD src0_sel:BYTE_0 src1_sel:DWORD
	v_cndmask_b32_e32 v30, 22, v30, vcc_lo
	v_cmp_ne_u32_e32 vcc_lo, 10, v19
	v_lshlrev_b16 v30, 8, v30
	v_cndmask_b32_e32 v37, 22, v37, vcc_lo
	v_cmp_ne_u32_e32 vcc_lo, 12, v19
	v_or_b32_sdwa v26, v37, v28 dst_sel:WORD_1 dst_unused:UNUSED_PAD src0_sel:BYTE_0 src1_sel:DWORD
	v_cndmask_b32_e32 v39, 22, v12, vcc_lo
	v_cmp_ne_u32_e32 vcc_lo, 15, v19
	v_lshrrev_b32_e32 v37, 8, v21
	v_or_b32_sdwa v24, v24, v26 dst_sel:DWORD dst_unused:UNUSED_PAD src0_sel:WORD_0 src1_sel:DWORD
	v_or_b32_sdwa v28, v39, v30 dst_sel:DWORD dst_unused:UNUSED_PAD src0_sel:BYTE_0 src1_sel:DWORD
	v_cndmask_b32_e32 v38, 22, v38, vcc_lo
	v_cmp_ne_u32_e32 vcc_lo, 16, v19
	v_lshrrev_b32_e32 v39, 24, v21
	v_lshrrev_b32_e32 v30, 16, v12
	v_lshlrev_b16 v29, 8, v38
	v_cndmask_b32_e32 v38, 22, v21, vcc_lo
	v_cmp_ne_u32_e32 vcc_lo, 17, v19
	v_cndmask_b32_e32 v37, 22, v37, vcc_lo
	v_cmp_ne_u32_e32 vcc_lo, 19, v19
	v_lshlrev_b16 v37, 8, v37
	v_cndmask_b32_e32 v39, 22, v39, vcc_lo
	v_cmp_ne_u32_e32 vcc_lo, 21, v19
	v_or_b32_sdwa v37, v38, v37 dst_sel:DWORD dst_unused:UNUSED_PAD src0_sel:BYTE_0 src1_sel:DWORD
	v_lshlrev_b16 v39, 8, v39
	v_cndmask_b32_e32 v40, 22, v40, vcc_lo
	v_cmp_ne_u32_e32 vcc_lo, 23, v19
	v_lshlrev_b16 v40, 8, v40
	v_cndmask_b32_e32 v41, 22, v41, vcc_lo
	v_cmp_ne_u32_e32 vcc_lo, 20, v19
	;; [unrolled: 3-line block ×3, first 2 shown]
	v_or_b32_sdwa v40, v43, v40 dst_sel:DWORD dst_unused:UNUSED_PAD src0_sel:BYTE_0 src1_sel:DWORD
	v_cndmask_b32_e32 v42, 22, v42, vcc_lo
	v_cmp_ne_u32_e32 vcc_lo, 18, v19
	v_or_b32_sdwa v41, v42, v41 dst_sel:WORD_1 dst_unused:UNUSED_PAD src0_sel:BYTE_0 src1_sel:DWORD
	v_cndmask_b32_e32 v42, 22, v44, vcc_lo
	v_cmp_ne_u32_e32 vcc_lo, 14, v19
	v_or_b32_sdwa v40, v40, v41 dst_sel:DWORD dst_unused:UNUSED_PAD src0_sel:WORD_0 src1_sel:DWORD
	v_or_b32_sdwa v38, v42, v39 dst_sel:WORD_1 dst_unused:UNUSED_PAD src0_sel:BYTE_0 src1_sel:DWORD
	v_cndmask_b32_e32 v30, 22, v30, vcc_lo
	v_bfe_u32 v39, v11, 22, 1
	v_cmp_eq_u32_e32 vcc_lo, 0, v27
	v_or_b32_sdwa v26, v37, v38 dst_sel:DWORD dst_unused:UNUSED_PAD src0_sel:WORD_0 src1_sel:DWORD
	v_or_b32_sdwa v27, v30, v29 dst_sel:WORD_1 dst_unused:UNUSED_PAD src0_sel:BYTE_0 src1_sel:DWORD
	v_add_nc_u32_e32 v19, v19, v39
	v_cndmask_b32_e32 v17, v40, v17, vcc_lo
	v_cndmask_b32_e32 v18, v23, v18, vcc_lo
	;; [unrolled: 1-line block ×3, first 2 shown]
	v_or_b32_sdwa v27, v28, v27 dst_sel:DWORD dst_unused:UNUSED_PAD src0_sel:WORD_0 src1_sel:DWORD
	v_cmp_ne_u32_e64 s6, 21, v19
	v_lshrrev_b32_e32 v29, 8, v17
	v_lshrrev_b32_e32 v28, 24, v17
	v_cndmask_b32_e32 v20, v24, v20, vcc_lo
	v_cndmask_b32_e32 v22, v25, v22, vcc_lo
	v_lshrrev_b32_e32 v25, 8, v18
	v_cndmask_b32_e64 v26, 23, v29, s6
	v_cmp_ne_u32_e64 s6, 23, v19
	v_lshrrev_b32_e32 v29, 16, v17
	v_cndmask_b32_e32 v12, v27, v12, vcc_lo
	v_lshrrev_b32_e32 v27, 24, v18
	v_lshlrev_b16 v26, 8, v26
	v_cndmask_b32_e64 v28, 23, v28, s6
	v_cmp_ne_u32_e64 s6, 20, v19
	v_lshrrev_b32_e32 v38, 24, v12
	v_lshrrev_b32_e32 v41, 16, v12
	;; [unrolled: 1-line block ×3, first 2 shown]
	v_lshlrev_b16 v28, 8, v28
	v_cndmask_b32_e64 v30, 23, v17, s6
	v_cmp_ne_u32_e64 s6, 22, v19
	v_lshrrev_b32_e32 v43, 24, v21
	v_lshrrev_b32_e32 v44, 16, v21
	;; [unrolled: 1-line block ×3, first 2 shown]
	v_or_b32_sdwa v23, v30, v26 dst_sel:DWORD dst_unused:UNUSED_PAD src0_sel:BYTE_0 src1_sel:DWORD
	v_cndmask_b32_e64 v29, 23, v29, s6
	v_cmp_ne_u32_e64 s6, 1, v19
	v_and_b32_e32 v26, 0x800000, v11
	v_bfe_u32 v11, v11, 23, 1
	v_or_b32_sdwa v24, v29, v28 dst_sel:WORD_1 dst_unused:UNUSED_PAD src0_sel:BYTE_0 src1_sel:DWORD
	v_lshrrev_b32_e32 v28, 16, v18
	v_cmp_eq_u32_e32 vcc_lo, 0, v26
	v_lshrrev_b32_e32 v29, 24, v22
	v_or_b32_sdwa v23, v23, v24 dst_sel:DWORD dst_unused:UNUSED_PAD src0_sel:WORD_0 src1_sel:DWORD
	v_cndmask_b32_e64 v24, 23, v25, s6
	v_cmp_ne_u32_e64 s6, 3, v19
	v_lshlrev_b16 v24, 8, v24
	v_cndmask_b32_e64 v25, 23, v27, s6
	v_cmp_ne_u32_e64 s6, 0, v19
	v_lshrrev_b32_e32 v27, 8, v22
	v_lshlrev_b16 v25, 8, v25
	v_cndmask_b32_e64 v26, 23, v18, s6
	v_cmp_ne_u32_e64 s6, 5, v19
	v_or_b32_sdwa v24, v26, v24 dst_sel:DWORD dst_unused:UNUSED_PAD src0_sel:BYTE_0 src1_sel:DWORD
	v_cndmask_b32_e64 v27, 23, v27, s6
	v_cmp_ne_u32_e64 s6, 2, v19
	v_lshrrev_b32_e32 v26, 8, v20
	v_lshlrev_b16 v27, 8, v27
	v_cndmask_b32_e64 v28, 23, v28, s6
	v_cmp_ne_u32_e64 s6, 4, v19
	v_or_b32_sdwa v25, v28, v25 dst_sel:WORD_1 dst_unused:UNUSED_PAD src0_sel:BYTE_0 src1_sel:DWORD
	v_cndmask_b32_e64 v30, 23, v22, s6
	v_cmp_ne_u32_e64 s6, 7, v19
	v_or_b32_sdwa v24, v24, v25 dst_sel:DWORD dst_unused:UNUSED_PAD src0_sel:WORD_0 src1_sel:DWORD
	v_or_b32_sdwa v27, v30, v27 dst_sel:DWORD dst_unused:UNUSED_PAD src0_sel:BYTE_0 src1_sel:DWORD
	v_cndmask_b32_e64 v29, 23, v29, s6
	v_cmp_ne_u32_e64 s6, 9, v19
	v_lshrrev_b32_e32 v30, 24, v20
	v_lshlrev_b16 v28, 8, v29
	v_cndmask_b32_e64 v26, 23, v26, s6
	v_cmp_ne_u32_e64 s6, 8, v19
	v_lshrrev_b32_e32 v29, 16, v22
	v_lshlrev_b16 v26, 8, v26
	v_cndmask_b32_e64 v37, 23, v20, s6
	v_cmp_ne_u32_e64 s6, 11, v19
	v_or_b32_sdwa v26, v37, v26 dst_sel:DWORD dst_unused:UNUSED_PAD src0_sel:BYTE_0 src1_sel:DWORD
	v_cndmask_b32_e64 v30, 23, v30, s6
	v_cmp_ne_u32_e64 s6, 6, v19
	v_lshrrev_b32_e32 v37, 8, v12
	v_lshlrev_b16 v30, 8, v30
	v_cndmask_b32_e64 v29, 23, v29, s6
	v_cmp_ne_u32_e64 s6, 13, v19
	v_or_b32_sdwa v28, v29, v28 dst_sel:WORD_1 dst_unused:UNUSED_PAD src0_sel:BYTE_0 src1_sel:DWORD
	v_cndmask_b32_e64 v37, 23, v37, s6
	v_cmp_ne_u32_e64 s6, 15, v19
	v_or_b32_sdwa v27, v27, v28 dst_sel:DWORD dst_unused:UNUSED_PAD src0_sel:WORD_0 src1_sel:DWORD
	v_lshlrev_b16 v37, 8, v37
	v_cndmask_b32_e64 v38, 23, v38, s6
	v_cmp_ne_u32_e64 s6, 12, v19
	v_cndmask_b32_e32 v46, v27, v22, vcc_lo
	v_lshlrev_b16 v38, 8, v38
	v_cndmask_b32_e64 v40, 23, v12, s6
	v_cmp_ne_u32_e64 s6, 14, v19
	v_lshrrev_b32_e32 v76, 24, v46
	v_lshrrev_b32_e32 v78, 16, v46
	v_lshrrev_b32_e32 v81, 8, v46
	v_or_b32_sdwa v37, v40, v37 dst_sel:DWORD dst_unused:UNUSED_PAD src0_sel:BYTE_0 src1_sel:DWORD
	v_cndmask_b32_e64 v41, 23, v41, s6
	v_cmp_ne_u32_e64 s6, 17, v19
	v_or_b32_sdwa v38, v41, v38 dst_sel:WORD_1 dst_unused:UNUSED_PAD src0_sel:BYTE_0 src1_sel:DWORD
	v_cndmask_b32_e64 v42, 23, v42, s6
	v_cmp_ne_u32_e64 s6, 19, v19
	v_or_b32_sdwa v29, v37, v38 dst_sel:DWORD dst_unused:UNUSED_PAD src0_sel:WORD_0 src1_sel:DWORD
	v_lshlrev_b16 v42, 8, v42
	v_cndmask_b32_e64 v43, 23, v43, s6
	v_cmp_ne_u32_e64 s6, 16, v19
	v_mul_f64 v[37:38], v[13:14], 0.5
	v_mov_b32_e32 v13, 0
	v_mov_b32_e32 v14, 0
	v_lshlrev_b16 v43, 8, v43
	v_cndmask_b32_e64 v45, 23, v21, s6
	v_cmp_ne_u32_e64 s6, 18, v19
	v_or_b32_sdwa v40, v45, v42 dst_sel:DWORD dst_unused:UNUSED_PAD src0_sel:BYTE_0 src1_sel:DWORD
	v_cndmask_b32_e64 v44, 23, v44, s6
	v_cmp_ne_u32_e64 s6, 10, v19
	v_cndmask_b32_e32 v45, v24, v18, vcc_lo
	v_or_b32_sdwa v42, v44, v43 dst_sel:WORD_1 dst_unused:UNUSED_PAD src0_sel:BYTE_0 src1_sel:DWORD
	v_cndmask_b32_e64 v39, 23, v39, s6
	v_cndmask_b32_e32 v44, v29, v12, vcc_lo
	v_lshrrev_b64 v[47:48], 24, v[45:46]
	v_lshrrev_b32_e32 v77, 16, v45
	v_or_b32_sdwa v25, v40, v42 dst_sel:DWORD dst_unused:UNUSED_PAD src0_sel:WORD_0 src1_sel:DWORD
	v_or_b32_sdwa v30, v39, v30 dst_sel:WORD_1 dst_unused:UNUSED_PAD src0_sel:BYTE_0 src1_sel:DWORD
	v_mul_f64 v[39:40], v[15:16], 0.5
	v_cndmask_b32_e32 v42, v23, v17, vcc_lo
	v_mov_b32_e32 v17, 0
	v_cndmask_b32_e32 v41, v25, v21, vcc_lo
	v_or_b32_sdwa v26, v26, v30 dst_sel:DWORD dst_unused:UNUSED_PAD src0_sel:WORD_0 src1_sel:DWORD
	v_mov_b32_e32 v15, 0
	v_lshrrev_b32_e32 v72, 24, v42
	v_lshrrev_b32_e32 v48, 16, v42
	v_lshrrev_b64 v[51:52], 24, v[41:42]
	v_cndmask_b32_e32 v43, v26, v20, vcc_lo
	v_add_nc_u32_e32 v52, v19, v11
	v_mov_b32_e32 v11, 0
	v_lshrrev_b32_e32 v74, 8, v42
	v_lshrrev_b32_e32 v73, 8, v41
	v_lshrrev_b64 v[49:50], 24, v[43:44]
	v_lshrrev_b32_e32 v50, 16, v41
	v_lshrrev_b32_e32 v79, 24, v44
	;; [unrolled: 1-line block ×7, first 2 shown]
	v_mov_b32_e32 v12, 0
	v_mov_b32_e32 v18, 0
	;; [unrolled: 1-line block ×3, first 2 shown]
	v_cmpx_ne_u32_e32 0, v52
	s_cbranch_execz .LBB0_283
; %bb.124:
	v_mov_b32_e32 v54, 0
	v_mov_b32_e32 v15, 0
	;; [unrolled: 1-line block ×5, first 2 shown]
	v_add_nc_u32_e32 v83, 0xa0, v0
	v_add_nc_u32_e32 v84, 0xa8, v0
	;; [unrolled: 1-line block ×4, first 2 shown]
	v_mov_b32_e32 v53, v54
	v_add_nc_u32_e32 v87, -8, v0
	v_add_nc_u32_e32 v88, 0xa8, v0
	v_add_nc_u32_e32 v89, 24, v0
	;; [unrolled: 1-line block ×3, first 2 shown]
	v_mov_b32_e32 v16, 0
	v_mov_b32_e32 v91, 3
	;; [unrolled: 1-line block ×6, first 2 shown]
	s_mov_b32 s10, 0x55555555
	s_mov_b64 s[8:9], 0
	s_mov_b32 s11, 0x3fd55555
	s_branch .LBB0_126
.LBB0_125:                              ;   in Loop: Header=BB0_126 Depth=1
	s_or_b32 exec_lo, exec_lo, s6
	s_add_u32 s8, s8, 1
	s_addc_u32 s9, s9, 0
	v_cmp_eq_u64_e32 vcc_lo, s[8:9], v[52:53]
	s_or_b32 s12, vcc_lo, s12
	s_andn2_b32 exec_lo, exec_lo, s12
	s_cbranch_execz .LBB0_282
.LBB0_126:                              ; =>This Loop Header: Depth=1
                                        ;     Child Loop BB0_185 Depth 2
                                        ;     Child Loop BB0_199 Depth 2
	;; [unrolled: 1-line block ×11, first 2 shown]
	s_cmp_eq_u32 s8, 1
	s_mov_b32 s6, exec_lo
	s_cselect_b32 vcc_lo, -1, 0
	s_cmp_eq_u32 s8, 2
	v_cndmask_b32_e32 v19, v45, v75, vcc_lo
	s_cselect_b32 vcc_lo, -1, 0
	s_cmp_eq_u32 s8, 3
                                        ; implicit-def: $vgpr25
                                        ; implicit-def: $vgpr22
                                        ; implicit-def: $vgpr20
                                        ; implicit-def: $vgpr23
                                        ; implicit-def: $vgpr26
                                        ; implicit-def: $vgpr27
	v_cndmask_b32_e32 v19, v19, v77, vcc_lo
	s_cselect_b32 vcc_lo, -1, 0
	s_cmp_eq_u32 s8, 4
	v_cndmask_b32_e32 v19, v19, v47, vcc_lo
	s_cselect_b32 vcc_lo, -1, 0
	s_cmp_eq_u32 s8, 5
	;; [unrolled: 3-line block ×20, first 2 shown]
	v_cndmask_b32_e32 v19, v19, v48, vcc_lo
	s_cselect_b32 vcc_lo, -1, 0
	v_cndmask_b32_e32 v24, v19, v72, vcc_lo
                                        ; implicit-def: $vgpr19
	v_bfe_u32 v21, v24, 2, 6
	v_cmpx_lt_i32_e32 1, v21
	s_xor_b32 s6, exec_lo, s6
	s_cbranch_execz .LBB0_138
; %bb.127:                              ;   in Loop: Header=BB0_126 Depth=1
	s_mov_b32 s13, exec_lo
                                        ; implicit-def: $vgpr25
                                        ; implicit-def: $vgpr19
                                        ; implicit-def: $vgpr22
                                        ; implicit-def: $vgpr20
                                        ; implicit-def: $vgpr23
                                        ; implicit-def: $vgpr26
                                        ; implicit-def: $vgpr27
	v_cmpx_lt_i32_e32 2, v21
	s_xor_b32 s13, exec_lo, s13
	s_cbranch_execz .LBB0_135
; %bb.128:                              ;   in Loop: Header=BB0_126 Depth=1
	s_mov_b32 s14, exec_lo
                                        ; implicit-def: $vgpr25
                                        ; implicit-def: $vgpr19
                                        ; implicit-def: $vgpr22
                                        ; implicit-def: $vgpr20
                                        ; implicit-def: $vgpr23
                                        ; implicit-def: $vgpr26
                                        ; implicit-def: $vgpr27
	v_cmpx_lt_i32_e32 3, v21
	s_xor_b32 s14, exec_lo, s14
	s_cbranch_execz .LBB0_132
; %bb.129:                              ;   in Loop: Header=BB0_126 Depth=1
	s_mov_b32 s15, exec_lo
	v_cmpx_ne_u32_e32 4, v21
	s_xor_b32 s15, exec_lo, s15
	s_or_saveexec_b32 s15, s15
	v_mov_b32_e32 v21, 4
	v_mov_b32_e32 v23, 6
	;; [unrolled: 1-line block ×8, first 2 shown]
	s_xor_b32 exec_lo, exec_lo, s15
	s_cbranch_execz .LBB0_131
; %bb.130:                              ;   in Loop: Header=BB0_126 Depth=1
	v_mov_b32_e32 v21, 0
	v_mov_b32_e32 v23, 1
	v_mov_b32_e32 v22, 3
	v_mov_b32_e32 v25, 2
	v_mov_b32_e32 v27, 0xd0
	v_mov_b32_e32 v19, s24
	v_mov_b32_e32 v20, s21
	v_mov_b32_e32 v26, s22
.LBB0_131:                              ;   in Loop: Header=BB0_126 Depth=1
	s_or_b32 exec_lo, exec_lo, s15
.LBB0_132:                              ;   in Loop: Header=BB0_126 Depth=1
	s_andn2_saveexec_b32 s14, s14
	s_cbranch_execz .LBB0_134
; %bb.133:                              ;   in Loop: Header=BB0_126 Depth=1
	v_mov_b32_e32 v21, 2
	v_mov_b32_e32 v23, 3
	;; [unrolled: 1-line block ×8, first 2 shown]
.LBB0_134:                              ;   in Loop: Header=BB0_126 Depth=1
	s_or_b32 exec_lo, exec_lo, s14
.LBB0_135:                              ;   in Loop: Header=BB0_126 Depth=1
	s_andn2_saveexec_b32 s13, s13
	s_cbranch_execz .LBB0_137
; %bb.136:                              ;   in Loop: Header=BB0_126 Depth=1
	v_mov_b32_e32 v21, 0
	v_mov_b32_e32 v23, 4
	v_mov_b32_e32 v22, 5
	v_mov_b32_e32 v25, 1
	v_mov_b32_e32 v27, 0xd0
	v_mov_b32_e32 v19, s22
	v_mov_b32_e32 v20, s20
	v_mov_b32_e32 v26, s25
.LBB0_137:                              ;   in Loop: Header=BB0_126 Depth=1
	s_or_b32 exec_lo, exec_lo, s13
.LBB0_138:                              ;   in Loop: Header=BB0_126 Depth=1
	s_andn2_saveexec_b32 s6, s6
	s_cbranch_execz .LBB0_142
; %bb.139:                              ;   in Loop: Header=BB0_126 Depth=1
	v_mov_b32_e32 v23, 2
	v_mov_b32_e32 v22, 6
	;; [unrolled: 1-line block ×7, first 2 shown]
	s_mov_b32 s13, exec_lo
	v_cmpx_lt_i32_e32 0, v21
	s_cbranch_execz .LBB0_141
; %bb.140:                              ;   in Loop: Header=BB0_126 Depth=1
	v_mov_b32_e32 v21, 1
	v_mov_b32_e32 v23, 5
	;; [unrolled: 1-line block ×8, first 2 shown]
.LBB0_141:                              ;   in Loop: Header=BB0_126 Depth=1
	s_or_b32 exec_lo, exec_lo, s13
.LBB0_142:                              ;   in Loop: Header=BB0_126 Depth=1
	s_or_b32 exec_lo, exec_lo, s6
	v_lshl_add_u32 v30, v21, 3, 0xd0
	v_lshl_add_u32 v63, v23, 3, 0xd0
	s_clause 0x7
	buffer_load_dword v28, v27, s[0:3], 0 offen
	buffer_load_dword v29, v27, s[0:3], 0 offen offset:4
	buffer_load_dword v55, v26, s[0:3], 0 offen
	buffer_load_dword v56, v26, s[0:3], 0 offen offset:4
	buffer_load_dword v26, v30, s[0:3], 0 offen offset:64
	;; [unrolled: 1-line block ×5, first 2 shown]
	v_lshl_add_u32 v69, v22, 3, 0xd0
	s_clause 0x7
	buffer_load_dword v59, v20, s[0:3], 0 offen
	buffer_load_dword v60, v20, s[0:3], 0 offen offset:4
	buffer_load_dword v61, v69, s[0:3], 0 offen offset:64
	;; [unrolled: 1-line block ×7, first 2 shown]
	v_lshl_add_u32 v30, v25, 3, 0xd0
	s_clause 0x7
	buffer_load_dword v67, v19, s[0:3], 0 offen
	buffer_load_dword v68, v19, s[0:3], 0 offen offset:4
	buffer_load_dword v19, v30, s[0:3], 0 offen offset:64
	;; [unrolled: 1-line block ×7, first 2 shown]
	s_mov_b32 s6, exec_lo
	s_waitcnt vmcnt(20)
	v_add_f64 v[28:29], v[28:29], v[55:56]
	s_waitcnt vmcnt(16)
	v_add_f64 v[26:27], v[26:27], v[57:58]
	;; [unrolled: 2-line block ×3, first 2 shown]
	v_add_f64 v[28:29], v[28:29], v[59:60]
	v_add_f64 v[26:27], v[26:27], v[61:62]
	s_waitcnt vmcnt(6)
	v_add_f64 v[28:29], v[28:29], v[67:68]
	s_waitcnt vmcnt(4)
	;; [unrolled: 2-line block ×3, first 2 shown]
	v_add_f64 v[26:27], v[55:56], v[95:96]
	v_fma_f64 v[28:29], 0x3fd00000, v[28:29], -v[1:2]
	v_fma_f64 v[19:20], 0x3fd00000, v[19:20], -v[5:6]
	s_waitcnt vmcnt(0)
	v_add_f64 v[26:27], v[26:27], v[93:94]
	v_mul_f64 v[28:29], v[33:34], v[28:29]
	v_mul_f64 v[19:20], v[7:8], v[19:20]
	v_fma_f64 v[26:27], 0x3fd00000, v[26:27], -v[9:10]
	ds_write2_b64 v0, v[28:29], v[19:20] offset0:1 offset1:11
	ds_write_b64 v0, v[26:27] offset:168
	v_and_b32_sdwa v26, v24, v91 dst_sel:DWORD dst_unused:UNUSED_PAD src0_sel:BYTE_0 src1_sel:DWORD
                                        ; implicit-def: $vgpr24
	v_cmpx_lt_i32_e32 1, v26
	s_xor_b32 s6, exec_lo, s6
	s_cbranch_execz .LBB0_148
; %bb.143:                              ;   in Loop: Header=BB0_126 Depth=1
	s_mov_b32 s13, exec_lo
	v_cmpx_lt_i32_e32 2, v26
	s_xor_b32 s13, exec_lo, s13
; %bb.144:                              ;   in Loop: Header=BB0_126 Depth=1
                                        ; implicit-def: $vgpr22
; %bb.145:                              ;   in Loop: Header=BB0_126 Depth=1
	s_or_saveexec_b32 s13, s13
	v_mov_b32_e32 v24, v25
	s_xor_b32 exec_lo, exec_lo, s13
; %bb.146:                              ;   in Loop: Header=BB0_126 Depth=1
	v_mov_b32_e32 v24, v22
	v_mov_b32_e32 v21, v25
; %bb.147:                              ;   in Loop: Header=BB0_126 Depth=1
	s_or_b32 exec_lo, exec_lo, s13
                                        ; implicit-def: $vgpr23
                                        ; implicit-def: $vgpr22
                                        ; implicit-def: $vgpr26
.LBB0_148:                              ;   in Loop: Header=BB0_126 Depth=1
	s_andn2_saveexec_b32 s6, s6
	s_cbranch_execz .LBB0_152
; %bb.149:                              ;   in Loop: Header=BB0_126 Depth=1
	s_mov_b32 s13, exec_lo
	v_cmpx_eq_u32_e32 1, v26
; %bb.150:                              ;   in Loop: Header=BB0_126 Depth=1
	v_mov_b32_e32 v21, v23
	v_mov_b32_e32 v23, v22
; %bb.151:                              ;   in Loop: Header=BB0_126 Depth=1
	s_or_b32 exec_lo, exec_lo, s13
	v_mov_b32_e32 v24, v21
	v_mov_b32_e32 v21, v23
.LBB0_152:                              ;   in Loop: Header=BB0_126 Depth=1
	s_or_b32 exec_lo, exec_lo, s6
	v_lshl_add_u32 v24, v24, 3, 0xd0
	v_lshl_add_u32 v21, v21, 3, 0xd0
	s_mov_b32 s6, 0
	s_mov_b32 s13, exec_lo
                                        ; implicit-def: $vgpr61
	s_clause 0xb
	buffer_load_dword v23, v24, s[0:3], 0 offen offset:68
	buffer_load_dword v25, v24, s[0:3], 0 offen offset:128
	;; [unrolled: 1-line block ×3, first 2 shown]
	buffer_load_dword v27, v24, s[0:3], 0 offen
	buffer_load_dword v28, v24, s[0:3], 0 offen offset:4
	buffer_load_dword v29, v21, s[0:3], 0 offen
	buffer_load_dword v30, v21, s[0:3], 0 offen offset:4
	buffer_load_dword v56, v21, s[0:3], 0 offen offset:68
	;; [unrolled: 1-line block ×6, first 2 shown]
	s_waitcnt vmcnt(1)
	v_add_f64 v[25:26], v[25:26], -v[9:10]
	v_add_f64 v[21:22], v[22:23], -v[5:6]
	;; [unrolled: 1-line block ×5, first 2 shown]
	v_mul_f64 v[57:58], v[7:8], v[21:22]
	v_mul_f64 v[55:56], v[33:34], v[23:24]
	;; [unrolled: 1-line block ×4, first 2 shown]
	s_waitcnt vmcnt(0)
	v_add_f64 v[27:28], v[59:60], -v[9:10]
                                        ; implicit-def: $vgpr29_vgpr30
	ds_write2_b64 v0, v[55:56], v[23:24] offset1:2
	ds_write2_b64 v0, v[57:58], v[21:22] offset0:10 offset1:12
	ds_write2_b64 v0, v[25:26], v[27:28] offset0:20 offset1:22
	v_cmpx_ngt_f64_e32 1.0, v[57:58]
	s_xor_b32 s13, exec_lo, s13
	s_cbranch_execz .LBB0_156
; %bb.153:                              ;   in Loop: Header=BB0_126 Depth=1
	v_mov_b32_e32 v61, 9
	s_mov_b32 s14, exec_lo
                                        ; implicit-def: $vgpr29_vgpr30
	v_cmpx_gt_f64_e32 1.0, v[21:22]
	s_xor_b32 s14, exec_lo, s14
	s_cbranch_execz .LBB0_155
; %bb.154:                              ;   in Loop: Header=BB0_126 Depth=1
	v_add_f64 v[29:30], v[57:58], -v[21:22]
	v_add_f64 v[57:58], -v[21:22], 1.0
	v_add_f64 v[55:56], v[55:56], -v[23:24]
	s_mov_b32 s6, exec_lo
	v_div_scale_f64 v[59:60], null, v[29:30], v[29:30], v[57:58]
	v_div_scale_f64 v[65:66], vcc_lo, v[57:58], v[29:30], v[57:58]
	v_rcp_f64_e32 v[61:62], v[59:60]
	v_fma_f64 v[63:64], -v[59:60], v[61:62], 1.0
	v_fma_f64 v[61:62], v[61:62], v[63:64], v[61:62]
	v_fma_f64 v[63:64], -v[59:60], v[61:62], 1.0
	v_fma_f64 v[61:62], v[61:62], v[63:64], v[61:62]
	v_mul_f64 v[63:64], v[65:66], v[61:62]
	v_fma_f64 v[59:60], -v[59:60], v[63:64], v[65:66]
	v_div_fmas_f64 v[59:60], v[59:60], v[61:62], v[63:64]
	v_mov_b32_e32 v61, 8
	v_div_fixup_f64 v[29:30], v[59:60], v[29:30], v[57:58]
	v_fma_f64 v[56:57], v[55:56], v[29:30], v[23:24]
	v_mov_b32_e32 v55, v92
	ds_write2_b64 v0, v[56:57], v[54:55] offset0:9 offset1:19
.LBB0_155:                              ;   in Loop: Header=BB0_126 Depth=1
	s_or_b32 exec_lo, exec_lo, s14
	s_and_b32 s6, s6, exec_lo
                                        ; implicit-def: $vgpr55_vgpr56
                                        ; implicit-def: $vgpr57_vgpr58
.LBB0_156:                              ;   in Loop: Header=BB0_126 Depth=1
	s_or_saveexec_b32 s13, s13
	v_mov_b32_e32 v60, v28
	v_mov_b32_e32 v62, 9
	;; [unrolled: 1-line block ×3, first 2 shown]
	s_xor_b32 exec_lo, exec_lo, s13
	s_cbranch_execz .LBB0_160
; %bb.157:                              ;   in Loop: Header=BB0_126 Depth=1
	v_mov_b32_e32 v62, 8
	v_mov_b32_e32 v61, 8
	s_mov_b32 s15, s6
	s_mov_b32 s14, exec_lo
	ds_write2_b64 v0, v[55:56], v[57:58] offset0:9 offset1:19
	ds_write_b64 v0, v[25:26] offset:232
                                        ; implicit-def: $vgpr29_vgpr30
	v_cmpx_le_f64_e32 1.0, v[21:22]
	s_cbranch_execz .LBB0_159
; %bb.158:                              ;   in Loop: Header=BB0_126 Depth=1
	v_add_f64 v[29:30], v[21:22], -v[57:58]
	v_add_f64 v[57:58], -v[57:58], 1.0
	v_mov_b32_e32 v61, 7
	s_or_b32 s15, s6, exec_lo
	v_div_scale_f64 v[59:60], null, v[29:30], v[29:30], v[57:58]
	v_div_scale_f64 v[67:68], vcc_lo, v[57:58], v[29:30], v[57:58]
	v_rcp_f64_e32 v[63:64], v[59:60]
	v_fma_f64 v[65:66], -v[59:60], v[63:64], 1.0
	v_fma_f64 v[63:64], v[63:64], v[65:66], v[63:64]
	v_fma_f64 v[65:66], -v[59:60], v[63:64], 1.0
	v_fma_f64 v[63:64], v[63:64], v[65:66], v[63:64]
	v_mul_f64 v[65:66], v[67:68], v[63:64]
	v_fma_f64 v[59:60], -v[59:60], v[65:66], v[67:68]
	v_div_fmas_f64 v[59:60], v[59:60], v[63:64], v[65:66]
	v_div_fixup_f64 v[29:30], v[59:60], v[29:30], v[57:58]
	v_add_f64 v[57:58], v[23:24], -v[55:56]
	v_fma_f64 v[56:57], v[57:58], v[29:30], v[55:56]
	v_mov_b32_e32 v55, v92
	ds_write2_b64 v0, v[56:57], v[54:55] offset0:8 offset1:18
.LBB0_159:                              ;   in Loop: Header=BB0_126 Depth=1
	s_or_b32 exec_lo, exec_lo, s14
	v_mov_b32_e32 v60, v26
	v_mov_b32_e32 v59, v25
	;; [unrolled: 1-line block ×4, first 2 shown]
	s_andn2_b32 s6, s6, exec_lo
	s_and_b32 s14, s15, exec_lo
	s_or_b32 s6, s6, s14
.LBB0_160:                              ;   in Loop: Header=BB0_126 Depth=1
	s_or_b32 exec_lo, exec_lo, s13
	s_and_saveexec_b32 s13, s6
	s_cbranch_execz .LBB0_162
; %bb.161:                              ;   in Loop: Header=BB0_126 Depth=1
	v_add_f64 v[25:26], v[25:26], -v[59:60]
	v_lshl_add_u32 v27, v62, 3, v0
	v_fma_f64 v[25:26], v[29:30], v[25:26], v[59:60]
	ds_write_b64 v27, v[25:26] offset:160
.LBB0_162:                              ;   in Loop: Header=BB0_126 Depth=1
	s_or_b32 exec_lo, exec_lo, s13
	s_mov_b32 s6, 0
	s_mov_b32 s13, exec_lo
                                        ; implicit-def: $vgpr25_vgpr26
                                        ; implicit-def: $vgpr27_vgpr28
	v_cmpx_ngt_f64_e32 1.0, v[21:22]
	s_xor_b32 s13, exec_lo, s13
	s_cbranch_execz .LBB0_166
; %bb.163:                              ;   in Loop: Header=BB0_126 Depth=1
	s_mov_b32 s14, exec_lo
                                        ; implicit-def: $vgpr25_vgpr26
                                        ; implicit-def: $vgpr27_vgpr28
	v_cmpx_gt_f64_e32 1.0, v[19:20]
	s_cbranch_execz .LBB0_165
; %bb.164:                              ;   in Loop: Header=BB0_126 Depth=1
	v_add_f64 v[25:26], v[21:22], -v[19:20]
	v_add_f64 v[27:28], -v[19:20], 1.0
	s_mov_b32 s6, exec_lo
	v_div_scale_f64 v[21:22], null, v[25:26], v[25:26], v[27:28]
	v_div_scale_f64 v[55:56], vcc_lo, v[27:28], v[25:26], v[27:28]
	v_rcp_f64_e32 v[23:24], v[21:22]
	v_fma_f64 v[29:30], -v[21:22], v[23:24], 1.0
	v_fma_f64 v[23:24], v[23:24], v[29:30], v[23:24]
	v_fma_f64 v[29:30], -v[21:22], v[23:24], 1.0
	v_fma_f64 v[23:24], v[23:24], v[29:30], v[23:24]
	v_mul_f64 v[29:30], v[55:56], v[23:24]
	v_fma_f64 v[21:22], -v[21:22], v[29:30], v[55:56]
	v_mov_b32_e32 v55, v92
	v_div_fmas_f64 v[29:30], v[21:22], v[23:24], v[29:30]
	ds_read2_b64 v[21:24], v0 offset0:1 offset1:2
	s_waitcnt lgkmcnt(0)
	v_add_f64 v[23:24], v[23:24], -v[21:22]
	v_div_fixup_f64 v[25:26], v[29:30], v[25:26], v[27:28]
	v_fma_f64 v[27:28], v[25:26], v[23:24], v[21:22]
	v_lshl_add_u32 v21, v61, 3, v0
	ds_write_b64 v21, v[54:55] offset:80
.LBB0_165:                              ;   in Loop: Header=BB0_126 Depth=1
	s_or_b32 exec_lo, exec_lo, s14
	s_and_b32 s6, s6, exec_lo
                                        ; implicit-def: $vgpr23_vgpr24
                                        ; implicit-def: $vgpr21_vgpr22
.LBB0_166:                              ;   in Loop: Header=BB0_126 Depth=1
	s_or_saveexec_b32 s13, s13
	v_mov_b32_e32 v55, 2
	v_mov_b32_e32 v30, -1
	v_mov_b32_e32 v56, v84
	v_mov_b32_e32 v29, v61
	s_xor_b32 exec_lo, exec_lo, s13
	s_cbranch_execz .LBB0_170
; %bb.167:                              ;   in Loop: Header=BB0_126 Depth=1
	v_lshl_add_u32 v29, v61, 3, v0
	s_mov_b32 s15, s6
	s_mov_b32 s14, exec_lo
                                        ; implicit-def: $vgpr25_vgpr26
                                        ; implicit-def: $vgpr27_vgpr28
	ds_write2_b64 v29, v[23:24], v[21:22] offset1:10
	ds_read2_b64 v[19:22], v0 offset0:11 offset1:22
	s_waitcnt lgkmcnt(0)
	ds_write_b64 v29, v[21:22] offset:160
	v_cmpx_le_f64_e32 1.0, v[19:20]
	s_cbranch_execz .LBB0_169
; %bb.168:                              ;   in Loop: Header=BB0_126 Depth=1
	ds_read_b64 v[25:26], v0 offset:96
	ds_read2_b64 v[21:24], v0 offset0:1 offset1:2
	s_or_b32 s15, s6, exec_lo
	s_waitcnt lgkmcnt(1)
	v_add_f64 v[27:28], v[19:20], -v[25:26]
	v_add_f64 v[25:26], -v[25:26], 1.0
	s_waitcnt lgkmcnt(0)
	v_add_f64 v[21:22], v[21:22], -v[23:24]
	v_div_scale_f64 v[55:56], null, v[27:28], v[27:28], v[25:26]
	v_div_scale_f64 v[62:63], vcc_lo, v[25:26], v[27:28], v[25:26]
	v_rcp_f64_e32 v[57:58], v[55:56]
	v_fma_f64 v[59:60], -v[55:56], v[57:58], 1.0
	v_fma_f64 v[57:58], v[57:58], v[59:60], v[57:58]
	v_fma_f64 v[59:60], -v[55:56], v[57:58], 1.0
	v_fma_f64 v[57:58], v[57:58], v[59:60], v[57:58]
	v_mul_f64 v[59:60], v[62:63], v[57:58]
	v_fma_f64 v[55:56], -v[55:56], v[59:60], v[62:63]
	v_div_fmas_f64 v[55:56], v[55:56], v[57:58], v[59:60]
	v_div_fixup_f64 v[25:26], v[55:56], v[27:28], v[25:26]
	v_mov_b32_e32 v55, v92
	ds_write_b64 v29, v[54:55] offset:72
	v_fma_f64 v[27:28], v[25:26], v[21:22], v[23:24]
.LBB0_169:                              ;   in Loop: Header=BB0_126 Depth=1
	s_or_b32 exec_lo, exec_lo, s14
	v_add_nc_u32_e32 v29, -1, v61
	v_mov_b32_e32 v55, 1
	v_mov_b32_e32 v30, -2
	v_mov_b32_e32 v56, v85
	s_andn2_b32 s6, s6, exec_lo
	s_and_b32 s14, s15, exec_lo
	s_or_b32 s6, s6, s14
.LBB0_170:                              ;   in Loop: Header=BB0_126 Depth=1
	s_or_b32 exec_lo, exec_lo, s13
	s_and_saveexec_b32 s13, s6
	s_cbranch_execz .LBB0_172
; %bb.171:                              ;   in Loop: Header=BB0_126 Depth=1
	v_lshl_add_u32 v57, v29, 3, v0
	v_lshl_add_u32 v19, v55, 3, v0
	v_add_nc_u32_e32 v29, v30, v61
	ds_write_b64 v57, v[27:28]
	ds_read_b64 v[21:22], v56
	ds_read_b64 v[23:24], v19 offset:160
	ds_read_b64 v[19:20], v0 offset:88
	s_waitcnt lgkmcnt(1)
	v_add_f64 v[23:24], v[23:24], -v[21:22]
	v_fma_f64 v[21:22], v[25:26], v[23:24], v[21:22]
	ds_write_b64 v57, v[21:22] offset:160
.LBB0_172:                              ;   in Loop: Header=BB0_126 Depth=1
	s_or_b32 exec_lo, exec_lo, s13
	s_mov_b32 s6, 0
	s_mov_b32 s13, exec_lo
                                        ; implicit-def: $vgpr21_vgpr22
                                        ; implicit-def: $vgpr23_vgpr24
	s_waitcnt lgkmcnt(1)
	v_cmpx_ngt_f64_e32 1.0, v[19:20]
	s_xor_b32 s13, exec_lo, s13
	s_cbranch_execz .LBB0_176
; %bb.173:                              ;   in Loop: Header=BB0_126 Depth=1
	ds_read_b64 v[25:26], v0 offset:80
	s_mov_b32 s14, exec_lo
                                        ; implicit-def: $vgpr21_vgpr22
                                        ; implicit-def: $vgpr23_vgpr24
	s_waitcnt lgkmcnt(0)
	v_cmpx_gt_f64_e32 1.0, v[25:26]
	s_cbranch_execz .LBB0_175
; %bb.174:                              ;   in Loop: Header=BB0_126 Depth=1
	v_add_f64 v[19:20], v[19:20], -v[25:26]
	v_add_f64 v[21:22], -v[25:26], 1.0
	s_mov_b32 s6, exec_lo
	v_div_scale_f64 v[23:24], null, v[19:20], v[19:20], v[21:22]
	v_div_scale_f64 v[55:56], vcc_lo, v[21:22], v[19:20], v[21:22]
	v_rcp_f64_e32 v[25:26], v[23:24]
	v_fma_f64 v[27:28], -v[23:24], v[25:26], 1.0
	v_fma_f64 v[25:26], v[25:26], v[27:28], v[25:26]
	v_fma_f64 v[27:28], -v[23:24], v[25:26], 1.0
	v_fma_f64 v[25:26], v[25:26], v[27:28], v[25:26]
	v_mul_f64 v[27:28], v[55:56], v[25:26]
	v_fma_f64 v[23:24], -v[23:24], v[27:28], v[55:56]
	v_mov_b32_e32 v55, v92
	v_div_fmas_f64 v[27:28], v[23:24], v[25:26], v[27:28]
	ds_read2_b64 v[23:26], v0 offset1:1
	v_div_fixup_f64 v[21:22], v[27:28], v[19:20], v[21:22]
	s_waitcnt lgkmcnt(0)
	v_add_f64 v[19:20], v[25:26], -v[23:24]
	v_fma_f64 v[23:24], v[21:22], v[19:20], v[23:24]
	v_lshl_add_u32 v19, v29, 3, v0
	ds_write_b64 v19, v[54:55] offset:80
.LBB0_175:                              ;   in Loop: Header=BB0_126 Depth=1
	s_or_b32 exec_lo, exec_lo, s14
	s_and_b32 s6, s6, exec_lo
                                        ; implicit-def: $vgpr19_vgpr20
.LBB0_176:                              ;   in Loop: Header=BB0_126 Depth=1
	s_or_saveexec_b32 s13, s13
	v_mov_b32_e32 v27, 1
	v_mov_b32_e32 v26, -1
	v_mov_b32_e32 v28, v83
	v_mov_b32_e32 v25, v29
	s_xor_b32 exec_lo, exec_lo, s13
	s_cbranch_execz .LBB0_180
; %bb.177:                              ;   in Loop: Header=BB0_126 Depth=1
	ds_read_b64 v[21:22], v0 offset:8
	v_lshl_add_u32 v25, v29, 3, v0
	s_mov_b32 s15, s6
	s_mov_b32 s14, exec_lo
                                        ; implicit-def: $vgpr23_vgpr24
	s_waitcnt lgkmcnt(0)
	ds_write2_b64 v25, v[21:22], v[19:20] offset1:10
	ds_read2_b64 v[19:22], v0 offset0:10 offset1:21
	s_waitcnt lgkmcnt(0)
	ds_write_b64 v25, v[21:22] offset:160
                                        ; implicit-def: $vgpr21_vgpr22
	v_cmpx_le_f64_e32 1.0, v[19:20]
	s_cbranch_execz .LBB0_179
; %bb.178:                              ;   in Loop: Header=BB0_126 Depth=1
	ds_read_b64 v[21:22], v0 offset:88
	ds_read2_b64 v[55:58], v0 offset1:1
	s_or_b32 s15, s6, exec_lo
	s_waitcnt lgkmcnt(1)
	v_add_f64 v[19:20], v[19:20], -v[21:22]
	v_add_f64 v[21:22], -v[21:22], 1.0
	v_div_scale_f64 v[23:24], null, v[19:20], v[19:20], v[21:22]
	v_div_scale_f64 v[61:62], vcc_lo, v[21:22], v[19:20], v[21:22]
	v_rcp_f64_e32 v[26:27], v[23:24]
	v_fma_f64 v[59:60], -v[23:24], v[26:27], 1.0
	v_fma_f64 v[26:27], v[26:27], v[59:60], v[26:27]
	v_fma_f64 v[59:60], -v[23:24], v[26:27], 1.0
	v_fma_f64 v[26:27], v[26:27], v[59:60], v[26:27]
	v_mul_f64 v[59:60], v[61:62], v[26:27]
	v_fma_f64 v[23:24], -v[23:24], v[59:60], v[61:62]
	v_div_fmas_f64 v[23:24], v[23:24], v[26:27], v[59:60]
	v_div_fixup_f64 v[21:22], v[23:24], v[19:20], v[21:22]
	s_waitcnt lgkmcnt(0)
	v_add_f64 v[19:20], v[55:56], -v[57:58]
	v_mov_b32_e32 v55, v92
	ds_write_b64 v25, v[54:55] offset:72
	v_fma_f64 v[23:24], v[21:22], v[19:20], v[57:58]
.LBB0_179:                              ;   in Loop: Header=BB0_126 Depth=1
	s_or_b32 exec_lo, exec_lo, s14
	v_add_nc_u32_e32 v25, -1, v29
	v_mov_b32_e32 v27, 0
	v_mov_b32_e32 v26, -2
	v_mov_b32_e32 v28, v84
	s_andn2_b32 s6, s6, exec_lo
	s_and_b32 s14, s15, exec_lo
	s_or_b32 s6, s6, s14
.LBB0_180:                              ;   in Loop: Header=BB0_126 Depth=1
	s_or_b32 exec_lo, exec_lo, s13
	s_and_saveexec_b32 s13, s6
	s_cbranch_execz .LBB0_182
; %bb.181:                              ;   in Loop: Header=BB0_126 Depth=1
	v_lshl_add_u32 v30, v25, 3, v0
	v_lshl_add_u32 v25, v27, 3, v0
	ds_write_b64 v30, v[23:24]
	ds_read_b64 v[19:20], v28
	ds_read_b64 v[23:24], v25 offset:160
	v_add_nc_u32_e32 v25, v26, v29
	s_waitcnt lgkmcnt(0)
	v_add_f64 v[23:24], v[23:24], -v[19:20]
	v_fma_f64 v[19:20], v[21:22], v[23:24], v[19:20]
	ds_write_b64 v30, v[19:20] offset:160
.LBB0_182:                              ;   in Loop: Header=BB0_126 Depth=1
	s_or_b32 exec_lo, exec_lo, s13
	v_add_nc_u32_e32 v19, 1, v25
	v_mov_b32_e32 v29, 0
	s_mov_b32 s6, exec_lo
	v_cmpx_ne_u32_e32 10, v19
	s_cbranch_execz .LBB0_196
; %bb.183:                              ;   in Loop: Header=BB0_126 Depth=1
	v_add_co_u32 v21, s13, v25, -9
	v_mov_b32_e32 v20, v54
	v_lshl_add_u32 v30, v25, 3, v86
	v_add_co_ci_u32_e64 v22, null, 0, -1, s13
	v_mov_b32_e32 v29, 0
	s_mov_b32 s13, 0
	v_mov_b32_e32 v23, 9
	v_mov_b32_e32 v24, 0
	s_branch .LBB0_185
.LBB0_184:                              ;   in Loop: Header=BB0_185 Depth=2
	s_or_b32 exec_lo, exec_lo, s15
	v_add_co_u32 v21, vcc_lo, v21, 1
	v_add_co_ci_u32_e64 v22, null, 0, v22, vcc_lo
	v_add_co_u32 v25, vcc_lo, v19, 1
	v_add_co_ci_u32_e64 v26, null, 0, v20, vcc_lo
	v_cmp_eq_u64_e32 vcc_lo, 0, v[21:22]
	v_mov_b32_e32 v24, v20
	v_mov_b32_e32 v23, v19
	v_mov_b32_e32 v19, v25
	v_add_nc_u32_e32 v30, 8, v30
	v_mov_b32_e32 v20, v26
	s_or_b32 s13, vcc_lo, s13
	s_andn2_b32 exec_lo, exec_lo, s13
	s_cbranch_execz .LBB0_195
.LBB0_185:                              ;   Parent Loop BB0_126 Depth=1
                                        ; =>  This Inner Loop Header: Depth=2
	v_lshl_add_u32 v56, v23, 3, v0
	s_mov_b32 s14, 0
	s_mov_b32 s15, exec_lo
                                        ; implicit-def: $vgpr23_vgpr24
	ds_read_b64 v[25:26], v56 offset:80
	s_waitcnt lgkmcnt(0)
	v_cmpx_le_f64_e32 0, v[25:26]
	s_xor_b32 s15, exec_lo, s15
	s_cbranch_execnz .LBB0_188
; %bb.186:                              ;   in Loop: Header=BB0_185 Depth=2
	s_andn2_saveexec_b32 s15, s15
	s_cbranch_execnz .LBB0_191
.LBB0_187:                              ;   in Loop: Header=BB0_185 Depth=2
	s_or_b32 exec_lo, exec_lo, s15
	s_and_saveexec_b32 s15, s14
	s_cbranch_execz .LBB0_184
	s_branch .LBB0_194
.LBB0_188:                              ;   in Loop: Header=BB0_185 Depth=2
	v_lshl_add_u32 v27, v29, 3, v0
	s_mov_b32 s16, exec_lo
	ds_write_b64 v27, v[25:26] offset:80
	ds_read_b64 v[23:24], v56
	s_waitcnt lgkmcnt(0)
	ds_write_b64 v27, v[23:24]
	ds_read_b64 v[23:24], v56 offset:160
	s_waitcnt lgkmcnt(0)
	ds_write_b64 v27, v[23:24] offset:160
	ds_read_b64 v[25:26], v30 offset:80
                                        ; implicit-def: $vgpr23_vgpr24
	s_waitcnt lgkmcnt(0)
	v_cmpx_gt_f64_e32 0, v[25:26]
	s_cbranch_execz .LBB0_190
; %bb.189:                              ;   in Loop: Header=BB0_185 Depth=2
	ds_read_b64 v[23:24], v56 offset:80
	v_add_f64 v[57:58], -v[25:26], 0
	v_mov_b32_e32 v55, v54
	s_mov_b32 s14, exec_lo
	ds_write_b64 v27, v[54:55] offset:88
	s_waitcnt lgkmcnt(1)
	v_add_f64 v[23:24], v[23:24], -v[25:26]
	v_div_scale_f64 v[25:26], null, v[23:24], v[23:24], v[57:58]
	v_div_scale_f64 v[63:64], vcc_lo, v[57:58], v[23:24], v[57:58]
	v_rcp_f64_e32 v[59:60], v[25:26]
	v_fma_f64 v[61:62], -v[25:26], v[59:60], 1.0
	v_fma_f64 v[59:60], v[59:60], v[61:62], v[59:60]
	v_fma_f64 v[61:62], -v[25:26], v[59:60], 1.0
	v_fma_f64 v[59:60], v[59:60], v[61:62], v[59:60]
	v_mul_f64 v[61:62], v[63:64], v[59:60]
	v_fma_f64 v[25:26], -v[25:26], v[61:62], v[63:64]
	ds_read_b64 v[63:64], v30
	v_div_fmas_f64 v[25:26], v[25:26], v[59:60], v[61:62]
	ds_read_b64 v[59:60], v56
	s_waitcnt lgkmcnt(0)
	v_add_f64 v[59:60], v[59:60], -v[63:64]
	v_div_fixup_f64 v[23:24], v[25:26], v[23:24], v[57:58]
	v_fma_f64 v[25:26], v[23:24], v[59:60], v[63:64]
	ds_write_b64 v27, v[25:26] offset:8
	ds_read_b64 v[25:26], v30 offset:160
	ds_read_b64 v[27:28], v56 offset:160
	s_waitcnt lgkmcnt(0)
	v_add_f64 v[27:28], v[27:28], -v[25:26]
	v_fma_f64 v[23:24], v[23:24], v[27:28], v[25:26]
.LBB0_190:                              ;   in Loop: Header=BB0_185 Depth=2
	s_or_b32 exec_lo, exec_lo, s16
	v_add_nc_u32_e32 v29, 1, v29
	s_and_b32 s14, s14, exec_lo
                                        ; implicit-def: $vgpr25_vgpr26
                                        ; implicit-def: $vgpr56
	s_andn2_saveexec_b32 s15, s15
	s_cbranch_execz .LBB0_187
.LBB0_191:                              ;   in Loop: Header=BB0_185 Depth=2
	ds_read_b64 v[27:28], v30 offset:80
	s_mov_b32 s17, s14
	s_mov_b32 s16, exec_lo
                                        ; implicit-def: $vgpr23_vgpr24
	s_waitcnt lgkmcnt(0)
	v_cmpx_le_f64_e32 0, v[27:28]
	s_cbranch_execz .LBB0_193
; %bb.192:                              ;   in Loop: Header=BB0_185 Depth=2
	v_add_f64 v[23:24], v[27:28], -v[25:26]
	v_add_f64 v[25:26], -v[25:26], 0
	v_lshl_add_u32 v63, v29, 3, v0
	v_mov_b32_e32 v55, v54
	s_or_b32 s17, s14, exec_lo
	ds_write_b64 v63, v[54:55] offset:80
	v_div_scale_f64 v[27:28], null, v[23:24], v[23:24], v[25:26]
	v_div_scale_f64 v[61:62], vcc_lo, v[25:26], v[23:24], v[25:26]
	v_rcp_f64_e32 v[57:58], v[27:28]
	v_fma_f64 v[59:60], -v[27:28], v[57:58], 1.0
	v_fma_f64 v[57:58], v[57:58], v[59:60], v[57:58]
	v_fma_f64 v[59:60], -v[27:28], v[57:58], 1.0
	v_fma_f64 v[57:58], v[57:58], v[59:60], v[57:58]
	v_mul_f64 v[59:60], v[61:62], v[57:58]
	v_fma_f64 v[27:28], -v[27:28], v[59:60], v[61:62]
	ds_read_b64 v[61:62], v56
	v_div_fmas_f64 v[27:28], v[27:28], v[57:58], v[59:60]
	ds_read_b64 v[57:58], v30
	s_waitcnt lgkmcnt(0)
	v_add_f64 v[57:58], v[57:58], -v[61:62]
	v_div_fixup_f64 v[23:24], v[27:28], v[23:24], v[25:26]
	v_fma_f64 v[25:26], v[23:24], v[57:58], v[61:62]
	ds_write_b64 v63, v[25:26]
	ds_read_b64 v[25:26], v56 offset:160
	ds_read_b64 v[27:28], v30 offset:160
	s_waitcnt lgkmcnt(0)
	v_add_f64 v[27:28], v[27:28], -v[25:26]
	v_fma_f64 v[23:24], v[23:24], v[27:28], v[25:26]
.LBB0_193:                              ;   in Loop: Header=BB0_185 Depth=2
	s_or_b32 exec_lo, exec_lo, s16
	s_andn2_b32 s14, s14, exec_lo
	s_and_b32 s16, s17, exec_lo
	s_or_b32 s14, s14, s16
	s_or_b32 exec_lo, exec_lo, s15
	s_and_saveexec_b32 s15, s14
	s_cbranch_execz .LBB0_184
.LBB0_194:                              ;   in Loop: Header=BB0_185 Depth=2
	v_lshl_add_u32 v25, v29, 3, v0
	v_add_nc_u32_e32 v29, 1, v29
	ds_write_b64 v25, v[23:24] offset:160
	s_branch .LBB0_184
.LBB0_195:                              ;   in Loop: Header=BB0_126 Depth=1
	s_or_b32 exec_lo, exec_lo, s13
.LBB0_196:                              ;   in Loop: Header=BB0_126 Depth=1
	s_or_b32 exec_lo, exec_lo, s6
	v_mov_b32_e32 v19, 10
	v_mov_b32_e32 v20, 0
	s_mov_b32 s6, exec_lo
	v_cmpx_ne_u32_e32 0, v29
	s_cbranch_execz .LBB0_210
; %bb.197:                              ;   in Loop: Header=BB0_126 Depth=1
	v_add_nc_u32_e32 v19, -1, v29
	v_lshl_add_u32 v30, v29, 3, v87
	v_mov_b32_e32 v56, 9
	s_mov_b32 s13, 0
	v_mov_b32_e32 v23, 0
	v_ashrrev_i32_e32 v20, 31, v19
	v_add_co_u32 v21, vcc_lo, v19, 1
	v_mov_b32_e32 v24, 0
	v_add_co_ci_u32_e64 v22, null, 0, v20, vcc_lo
	s_branch .LBB0_199
.LBB0_198:                              ;   in Loop: Header=BB0_199 Depth=2
	s_or_b32 exec_lo, exec_lo, s15
	v_add_co_u32 v21, vcc_lo, v21, -1
	v_add_co_ci_u32_e64 v22, null, -1, v22, vcc_lo
	v_add_co_u32 v25, vcc_lo, v19, -1
	v_add_co_ci_u32_e64 v26, null, -1, v20, vcc_lo
	v_cmp_eq_u64_e32 vcc_lo, 0, v[21:22]
	v_mov_b32_e32 v24, v20
	v_mov_b32_e32 v23, v19
	;; [unrolled: 1-line block ×3, first 2 shown]
	v_add_nc_u32_e32 v30, -8, v30
	v_mov_b32_e32 v56, v28
	v_mov_b32_e32 v20, v26
	s_or_b32 s13, vcc_lo, s13
	s_andn2_b32 exec_lo, exec_lo, s13
	s_cbranch_execz .LBB0_209
.LBB0_199:                              ;   Parent Loop BB0_126 Depth=1
                                        ; =>  This Inner Loop Header: Depth=2
	v_lshl_add_u32 v57, v23, 3, v0
	s_mov_b32 s14, 0
	s_mov_b32 s15, exec_lo
                                        ; implicit-def: $vgpr24_vgpr25
                                        ; implicit-def: $vgpr55
	ds_read_b64 v[26:27], v57
	s_waitcnt lgkmcnt(0)
	v_cmpx_ngt_f64_e32 1.0, v[26:27]
	s_xor_b32 s15, exec_lo, s15
	s_cbranch_execz .LBB0_203
; %bb.200:                              ;   in Loop: Header=BB0_199 Depth=2
	ds_read_b64 v[28:29], v30
	s_mov_b32 s16, exec_lo
                                        ; implicit-def: $vgpr24_vgpr25
                                        ; implicit-def: $vgpr55
	s_waitcnt lgkmcnt(0)
	v_cmpx_gt_f64_e32 1.0, v[28:29]
	s_xor_b32 s16, exec_lo, s16
	s_cbranch_execz .LBB0_202
; %bb.201:                              ;   in Loop: Header=BB0_199 Depth=2
	v_add_f64 v[24:25], v[26:27], -v[28:29]
	v_add_f64 v[26:27], -v[28:29], 1.0
	v_mov_b32_e32 v55, v92
	s_mov_b32 s14, exec_lo
	v_div_scale_f64 v[28:29], null, v[24:25], v[24:25], v[26:27]
	v_div_scale_f64 v[62:63], vcc_lo, v[26:27], v[24:25], v[26:27]
	v_rcp_f64_e32 v[58:59], v[28:29]
	v_fma_f64 v[60:61], -v[28:29], v[58:59], 1.0
	v_fma_f64 v[58:59], v[58:59], v[60:61], v[58:59]
	v_fma_f64 v[60:61], -v[28:29], v[58:59], 1.0
	v_fma_f64 v[58:59], v[58:59], v[60:61], v[58:59]
	v_mul_f64 v[60:61], v[62:63], v[58:59]
	v_fma_f64 v[28:29], -v[28:29], v[60:61], v[62:63]
	v_lshl_add_u32 v62, v56, 3, v0
	ds_write_b64 v62, v[54:55]
	v_add_nc_u32_e32 v55, 0xa0, v30
	v_div_fmas_f64 v[28:29], v[28:29], v[58:59], v[60:61]
	ds_read_b64 v[58:59], v30 offset:80
	ds_read_b64 v[60:61], v57 offset:80
	v_div_fixup_f64 v[24:25], v[28:29], v[24:25], v[26:27]
	s_waitcnt lgkmcnt(0)
	v_add_f64 v[26:27], v[60:61], -v[58:59]
	v_fma_f64 v[26:27], v[24:25], v[26:27], v[58:59]
	ds_write_b64 v62, v[26:27] offset:80
.LBB0_202:                              ;   in Loop: Header=BB0_199 Depth=2
	s_or_b32 exec_lo, exec_lo, s16
	s_and_b32 s14, s14, exec_lo
                                        ; implicit-def: $vgpr57
                                        ; implicit-def: $vgpr26_vgpr27
.LBB0_203:                              ;   in Loop: Header=BB0_199 Depth=2
	s_or_saveexec_b32 s15, s15
	v_mov_b32_e32 v29, -1
	v_mov_b32_e32 v28, v56
	s_xor_b32 exec_lo, exec_lo, s15
	s_cbranch_execz .LBB0_207
; %bb.204:                              ;   in Loop: Header=BB0_199 Depth=2
	v_lshl_add_u32 v28, v56, 3, v0
	s_mov_b32 s17, s14
	s_mov_b32 s16, exec_lo
	ds_write_b64 v28, v[26:27]
	ds_read_b64 v[23:24], v57 offset:80
	s_waitcnt lgkmcnt(0)
	ds_write_b64 v28, v[23:24] offset:80
	ds_read_b64 v[23:24], v57 offset:160
	s_waitcnt lgkmcnt(0)
	ds_write_b64 v28, v[23:24] offset:160
	ds_read_b64 v[26:27], v30
                                        ; implicit-def: $vgpr24_vgpr25
                                        ; implicit-def: $vgpr23
	s_waitcnt lgkmcnt(0)
	v_cmpx_le_f64_e32 1.0, v[26:27]
	s_cbranch_execz .LBB0_206
; %bb.205:                              ;   in Loop: Header=BB0_199 Depth=2
	ds_read_b64 v[23:24], v57
	v_mov_b32_e32 v55, v92
	s_or_b32 s17, s14, exec_lo
	s_waitcnt lgkmcnt(0)
	v_add_f64 v[25:26], v[26:27], -v[23:24]
	v_add_f64 v[23:24], -v[23:24], 1.0
	v_add_nc_u32_e32 v27, -8, v28
	ds_write_b64 v27, v[54:55]
	v_div_scale_f64 v[58:59], null, v[25:26], v[25:26], v[23:24]
	v_div_scale_f64 v[64:65], vcc_lo, v[23:24], v[25:26], v[23:24]
	v_rcp_f64_e32 v[60:61], v[58:59]
	v_fma_f64 v[62:63], -v[58:59], v[60:61], 1.0
	v_fma_f64 v[60:61], v[60:61], v[62:63], v[60:61]
	v_fma_f64 v[62:63], -v[58:59], v[60:61], 1.0
	v_fma_f64 v[60:61], v[60:61], v[62:63], v[60:61]
	v_mul_f64 v[62:63], v[64:65], v[60:61]
	v_fma_f64 v[58:59], -v[58:59], v[62:63], v[64:65]
	v_div_fmas_f64 v[58:59], v[58:59], v[60:61], v[62:63]
	ds_read_b64 v[60:61], v57 offset:80
	ds_read_b64 v[62:63], v30 offset:80
	v_div_fixup_f64 v[24:25], v[58:59], v[25:26], v[23:24]
	s_waitcnt lgkmcnt(0)
	v_add_f64 v[26:27], v[62:63], -v[60:61]
	v_mov_b32_e32 v23, v19
	v_fma_f64 v[26:27], v[24:25], v[26:27], v[60:61]
	ds_write_b64 v28, v[26:27] offset:72
.LBB0_206:                              ;   in Loop: Header=BB0_199 Depth=2
	s_or_b32 exec_lo, exec_lo, s16
	v_add_nc_u32_e32 v55, 0xa0, v57
	v_add_nc_u32_e32 v28, -1, v56
	v_mov_b32_e32 v29, -2
	s_andn2_b32 s14, s14, exec_lo
	s_and_b32 s16, s17, exec_lo
	s_or_b32 s14, s14, s16
.LBB0_207:                              ;   in Loop: Header=BB0_199 Depth=2
	s_or_b32 exec_lo, exec_lo, s15
	s_and_saveexec_b32 s15, s14
	s_cbranch_execz .LBB0_198
; %bb.208:                              ;   in Loop: Header=BB0_199 Depth=2
	v_lshl_add_u32 v23, v23, 3, v0
	ds_read_b64 v[26:27], v55
	ds_read_b64 v[57:58], v23 offset:160
	s_waitcnt lgkmcnt(0)
	v_add_f64 v[57:58], v[57:58], -v[26:27]
	v_fma_f64 v[23:24], v[24:25], v[57:58], v[26:27]
	v_lshl_add_u32 v25, v28, 3, v0
	v_add_nc_u32_e32 v28, v29, v56
	ds_write_b64 v25, v[23:24] offset:160
	s_branch .LBB0_198
.LBB0_209:                              ;   in Loop: Header=BB0_126 Depth=1
	s_or_b32 exec_lo, exec_lo, s13
	v_add_nc_u32_e32 v19, 1, v28
	v_ashrrev_i32_e32 v20, 31, v19
.LBB0_210:                              ;   in Loop: Header=BB0_126 Depth=1
	s_or_b32 exec_lo, exec_lo, s6
	v_mov_b32_e32 v56, 0
	s_mov_b32 s6, exec_lo
	v_cmpx_ne_u64_e32 10, v[19:20]
	s_cbranch_execz .LBB0_224
; %bb.211:                              ;   in Loop: Header=BB0_126 Depth=1
	v_add_co_u32 v21, vcc_lo, v19, -10
	v_lshl_add_u32 v29, v19, 3, v0
	v_add_co_ci_u32_e64 v22, null, -1, v20, vcc_lo
	v_mov_b32_e32 v56, 0
	s_mov_b32 s13, 0
	v_mov_b32_e32 v23, 9
	v_mov_b32_e32 v24, 0
	s_branch .LBB0_213
.LBB0_212:                              ;   in Loop: Header=BB0_213 Depth=2
	s_or_b32 exec_lo, exec_lo, s15
	v_add_co_u32 v21, vcc_lo, v21, 1
	v_add_co_ci_u32_e64 v22, null, 0, v22, vcc_lo
	v_add_co_u32 v25, vcc_lo, v19, 1
	v_add_co_ci_u32_e64 v26, null, 0, v20, vcc_lo
	v_cmp_eq_u64_e32 vcc_lo, 0, v[21:22]
	v_mov_b32_e32 v24, v20
	v_mov_b32_e32 v23, v19
	;; [unrolled: 1-line block ×3, first 2 shown]
	v_add_nc_u32_e32 v29, 8, v29
	v_mov_b32_e32 v20, v26
	s_or_b32 s13, vcc_lo, s13
	s_andn2_b32 exec_lo, exec_lo, s13
	s_cbranch_execz .LBB0_223
.LBB0_213:                              ;   Parent Loop BB0_126 Depth=1
                                        ; =>  This Inner Loop Header: Depth=2
	v_lshl_add_u32 v30, v23, 3, v0
	s_mov_b32 s14, 0
	s_mov_b32 s15, exec_lo
                                        ; implicit-def: $vgpr23_vgpr24
	ds_read_b64 v[25:26], v30
	s_waitcnt lgkmcnt(0)
	v_cmpx_le_f64_e32 0, v[25:26]
	s_xor_b32 s15, exec_lo, s15
	s_cbranch_execnz .LBB0_216
; %bb.214:                              ;   in Loop: Header=BB0_213 Depth=2
	s_andn2_saveexec_b32 s15, s15
	s_cbranch_execnz .LBB0_219
.LBB0_215:                              ;   in Loop: Header=BB0_213 Depth=2
	s_or_b32 exec_lo, exec_lo, s15
	s_and_saveexec_b32 s15, s14
	s_cbranch_execz .LBB0_212
	s_branch .LBB0_222
.LBB0_216:                              ;   in Loop: Header=BB0_213 Depth=2
	v_lshl_add_u32 v27, v56, 3, v0
	s_mov_b32 s16, exec_lo
	ds_write_b64 v27, v[25:26]
	ds_read_b64 v[23:24], v30 offset:80
	s_waitcnt lgkmcnt(0)
	ds_write_b64 v27, v[23:24] offset:80
	ds_read_b64 v[23:24], v30 offset:160
	s_waitcnt lgkmcnt(0)
	ds_write_b64 v27, v[23:24] offset:160
	ds_read_b64 v[25:26], v29
                                        ; implicit-def: $vgpr23_vgpr24
	s_waitcnt lgkmcnt(0)
	v_cmpx_gt_f64_e32 0, v[25:26]
	s_cbranch_execz .LBB0_218
; %bb.217:                              ;   in Loop: Header=BB0_213 Depth=2
	ds_read_b64 v[23:24], v30
	v_add_f64 v[57:58], -v[25:26], 0
	v_mov_b32_e32 v55, v54
	s_mov_b32 s14, exec_lo
	ds_write_b64 v27, v[54:55] offset:8
	s_waitcnt lgkmcnt(1)
	v_add_f64 v[23:24], v[23:24], -v[25:26]
	v_div_scale_f64 v[25:26], null, v[23:24], v[23:24], v[57:58]
	v_div_scale_f64 v[63:64], vcc_lo, v[57:58], v[23:24], v[57:58]
	v_rcp_f64_e32 v[59:60], v[25:26]
	v_fma_f64 v[61:62], -v[25:26], v[59:60], 1.0
	v_fma_f64 v[59:60], v[59:60], v[61:62], v[59:60]
	v_fma_f64 v[61:62], -v[25:26], v[59:60], 1.0
	v_fma_f64 v[59:60], v[59:60], v[61:62], v[59:60]
	v_mul_f64 v[61:62], v[63:64], v[59:60]
	v_fma_f64 v[25:26], -v[25:26], v[61:62], v[63:64]
	ds_read_b64 v[63:64], v29 offset:80
	v_div_fmas_f64 v[25:26], v[25:26], v[59:60], v[61:62]
	ds_read_b64 v[59:60], v30 offset:80
	s_waitcnt lgkmcnt(0)
	v_add_f64 v[59:60], v[59:60], -v[63:64]
	v_div_fixup_f64 v[23:24], v[25:26], v[23:24], v[57:58]
	v_fma_f64 v[25:26], v[23:24], v[59:60], v[63:64]
	ds_write_b64 v27, v[25:26] offset:88
	ds_read_b64 v[25:26], v29 offset:160
	ds_read_b64 v[27:28], v30 offset:160
	s_waitcnt lgkmcnt(0)
	v_add_f64 v[27:28], v[27:28], -v[25:26]
	v_fma_f64 v[23:24], v[23:24], v[27:28], v[25:26]
.LBB0_218:                              ;   in Loop: Header=BB0_213 Depth=2
	s_or_b32 exec_lo, exec_lo, s16
	v_add_nc_u32_e32 v56, 1, v56
	s_and_b32 s14, s14, exec_lo
                                        ; implicit-def: $vgpr25_vgpr26
                                        ; implicit-def: $vgpr30
	s_andn2_saveexec_b32 s15, s15
	s_cbranch_execz .LBB0_215
.LBB0_219:                              ;   in Loop: Header=BB0_213 Depth=2
	ds_read_b64 v[27:28], v29
	s_mov_b32 s17, s14
	s_mov_b32 s16, exec_lo
                                        ; implicit-def: $vgpr23_vgpr24
	s_waitcnt lgkmcnt(0)
	v_cmpx_le_f64_e32 0, v[27:28]
	s_cbranch_execz .LBB0_221
; %bb.220:                              ;   in Loop: Header=BB0_213 Depth=2
	v_add_f64 v[23:24], v[27:28], -v[25:26]
	v_add_f64 v[25:26], -v[25:26], 0
	v_lshl_add_u32 v63, v56, 3, v0
	v_mov_b32_e32 v55, v54
	s_or_b32 s17, s14, exec_lo
	ds_write_b64 v63, v[54:55]
	v_div_scale_f64 v[27:28], null, v[23:24], v[23:24], v[25:26]
	v_div_scale_f64 v[61:62], vcc_lo, v[25:26], v[23:24], v[25:26]
	v_rcp_f64_e32 v[57:58], v[27:28]
	v_fma_f64 v[59:60], -v[27:28], v[57:58], 1.0
	v_fma_f64 v[57:58], v[57:58], v[59:60], v[57:58]
	v_fma_f64 v[59:60], -v[27:28], v[57:58], 1.0
	v_fma_f64 v[57:58], v[57:58], v[59:60], v[57:58]
	v_mul_f64 v[59:60], v[61:62], v[57:58]
	v_fma_f64 v[27:28], -v[27:28], v[59:60], v[61:62]
	ds_read_b64 v[61:62], v30 offset:80
	v_div_fmas_f64 v[27:28], v[27:28], v[57:58], v[59:60]
	ds_read_b64 v[57:58], v29 offset:80
	s_waitcnt lgkmcnt(0)
	v_add_f64 v[57:58], v[57:58], -v[61:62]
	v_div_fixup_f64 v[23:24], v[27:28], v[23:24], v[25:26]
	v_fma_f64 v[25:26], v[23:24], v[57:58], v[61:62]
	ds_write_b64 v63, v[25:26] offset:80
	ds_read_b64 v[25:26], v30 offset:160
	ds_read_b64 v[27:28], v29 offset:160
	s_waitcnt lgkmcnt(0)
	v_add_f64 v[27:28], v[27:28], -v[25:26]
	v_fma_f64 v[23:24], v[23:24], v[27:28], v[25:26]
.LBB0_221:                              ;   in Loop: Header=BB0_213 Depth=2
	s_or_b32 exec_lo, exec_lo, s16
	s_andn2_b32 s14, s14, exec_lo
	s_and_b32 s16, s17, exec_lo
	s_or_b32 s14, s14, s16
	s_or_b32 exec_lo, exec_lo, s15
	s_and_saveexec_b32 s15, s14
	s_cbranch_execz .LBB0_212
.LBB0_222:                              ;   in Loop: Header=BB0_213 Depth=2
	v_lshl_add_u32 v25, v56, 3, v0
	v_add_nc_u32_e32 v56, 1, v56
	ds_write_b64 v25, v[23:24] offset:160
	s_branch .LBB0_212
.LBB0_223:                              ;   in Loop: Header=BB0_126 Depth=1
	s_or_b32 exec_lo, exec_lo, s13
.LBB0_224:                              ;   in Loop: Header=BB0_126 Depth=1
	s_or_b32 exec_lo, exec_lo, s6
	v_ashrrev_i32_e32 v57, 31, v56
	v_cmp_lt_i32_e64 s6, 0, v56
	s_and_saveexec_b32 s13, s6
	s_cbranch_execz .LBB0_227
; %bb.225:                              ;   in Loop: Header=BB0_126 Depth=1
	v_mov_b32_e32 v19, v56
	v_mov_b32_e32 v20, v57
	;; [unrolled: 1-line block ×3, first 2 shown]
	s_mov_b32 s14, 16
	s_mov_b32 s15, 0
	.p2align	6
.LBB0_226:                              ;   Parent Loop BB0_126 Depth=1
                                        ; =>  This Inner Loop Header: Depth=2
	ds_read2_b64 v[22:25], v21 offset1:10
	ds_read_b64 v[26:27], v21 offset:160
	v_add_co_u32 v19, vcc_lo, v19, -1
	v_add_co_ci_u32_e64 v20, null, -1, v20, vcc_lo
	v_mov_b32_e32 v28, s14
	v_add_nc_u32_e32 v21, 8, v21
	s_add_i32 s14, s14, 8
	v_cmp_eq_u64_e32 vcc_lo, 0, v[19:20]
	s_waitcnt lgkmcnt(1)
	buffer_store_dword v23, v28, s[0:3], 0 offen offset:4
	buffer_store_dword v22, v28, s[0:3], 0 offen
	buffer_store_dword v25, v28, s[0:3], 0 offen offset:68
	buffer_store_dword v24, v28, s[0:3], 0 offen offset:64
	s_waitcnt lgkmcnt(0)
	buffer_store_dword v27, v28, s[0:3], 0 offen offset:132
	buffer_store_dword v26, v28, s[0:3], 0 offen offset:128
	s_or_b32 s15, vcc_lo, s15
	s_andn2_b32 exec_lo, exec_lo, s15
	s_cbranch_execnz .LBB0_226
.LBB0_227:                              ;   in Loop: Header=BB0_126 Depth=1
	s_or_b32 exec_lo, exec_lo, s13
	v_sub_co_u32 v58, s13, v56, 1
	v_mov_b32_e32 v29, 9
	v_lshl_add_u32 v55, v56, 3, v87
	s_xor_b32 s13, s13, -1
	v_ashrrev_i32_e32 v59, 31, v58
	s_and_saveexec_b32 s14, s13
	s_cbranch_execz .LBB0_241
; %bb.228:                              ;   in Loop: Header=BB0_126 Depth=1
	v_add_co_u32 v19, vcc_lo, v58, 1
	v_mov_b32_e32 v21, v58
	v_lshl_add_u32 v30, v56, 3, v87
	v_add_co_ci_u32_e64 v20, null, 0, v59, vcc_lo
	v_mov_b32_e32 v29, 9
	v_mov_b32_e32 v22, v59
	s_mov_b32 s15, 0
	v_mov_b32_e32 v23, 0
	v_mov_b32_e32 v24, 0
	s_branch .LBB0_230
.LBB0_229:                              ;   in Loop: Header=BB0_230 Depth=2
	s_or_b32 exec_lo, exec_lo, s17
	v_add_co_u32 v19, vcc_lo, v19, -1
	v_add_co_ci_u32_e64 v20, null, -1, v20, vcc_lo
	v_add_co_u32 v25, vcc_lo, v21, -1
	v_add_co_ci_u32_e64 v26, null, -1, v22, vcc_lo
	v_cmp_eq_u64_e32 vcc_lo, 0, v[19:20]
	v_mov_b32_e32 v24, v22
	v_mov_b32_e32 v23, v21
	;; [unrolled: 1-line block ×3, first 2 shown]
	v_add_nc_u32_e32 v30, -8, v30
	v_mov_b32_e32 v22, v26
	s_or_b32 s15, vcc_lo, s15
	s_andn2_b32 exec_lo, exec_lo, s15
	s_cbranch_execz .LBB0_240
.LBB0_230:                              ;   Parent Loop BB0_126 Depth=1
                                        ; =>  This Inner Loop Header: Depth=2
	v_lshl_add_u32 v60, v23, 3, v0
	s_mov_b32 s16, 0
	s_mov_b32 s17, exec_lo
                                        ; implicit-def: $vgpr23_vgpr24
	ds_read_b64 v[25:26], v60 offset:160
	s_waitcnt lgkmcnt(0)
	v_cmpx_ge_f64_e32 v[25:26], v[35:36]
	s_xor_b32 s17, exec_lo, s17
	s_cbranch_execnz .LBB0_233
; %bb.231:                              ;   in Loop: Header=BB0_230 Depth=2
	s_andn2_saveexec_b32 s17, s17
	s_cbranch_execnz .LBB0_236
.LBB0_232:                              ;   in Loop: Header=BB0_230 Depth=2
	s_or_b32 exec_lo, exec_lo, s17
	s_and_saveexec_b32 s17, s16
	s_cbranch_execz .LBB0_229
	s_branch .LBB0_239
.LBB0_233:                              ;   in Loop: Header=BB0_230 Depth=2
	v_lshl_add_u32 v27, v29, 3, v0
	s_mov_b32 s18, exec_lo
	ds_write_b64 v27, v[25:26] offset:160
	ds_read_b64 v[23:24], v60
	s_waitcnt lgkmcnt(0)
	ds_write_b64 v27, v[23:24]
	ds_read_b64 v[23:24], v60 offset:80
	s_waitcnt lgkmcnt(0)
	ds_write_b64 v27, v[23:24] offset:80
	ds_read_b64 v[25:26], v30 offset:160
                                        ; implicit-def: $vgpr23_vgpr24
	s_waitcnt lgkmcnt(0)
	v_cmpx_lt_f64_e32 v[25:26], v[35:36]
	s_cbranch_execz .LBB0_235
; %bb.234:                              ;   in Loop: Header=BB0_230 Depth=2
	ds_read_b64 v[23:24], v60 offset:160
	v_add_f64 v[61:62], v[35:36], -v[25:26]
	ds_write_b64 v27, v[35:36] offset:152
	v_add_nc_u32_e32 v27, -8, v27
	s_mov_b32 s16, exec_lo
	s_waitcnt lgkmcnt(1)
	v_add_f64 v[23:24], v[23:24], -v[25:26]
	v_div_scale_f64 v[25:26], null, v[23:24], v[23:24], v[61:62]
	v_div_scale_f64 v[67:68], vcc_lo, v[61:62], v[23:24], v[61:62]
	v_rcp_f64_e32 v[63:64], v[25:26]
	v_fma_f64 v[65:66], -v[25:26], v[63:64], 1.0
	v_fma_f64 v[63:64], v[63:64], v[65:66], v[63:64]
	v_fma_f64 v[65:66], -v[25:26], v[63:64], 1.0
	v_fma_f64 v[63:64], v[63:64], v[65:66], v[63:64]
	v_mul_f64 v[65:66], v[67:68], v[63:64]
	v_fma_f64 v[25:26], -v[25:26], v[65:66], v[67:68]
	ds_read_b64 v[67:68], v30
	v_div_fmas_f64 v[25:26], v[25:26], v[63:64], v[65:66]
	ds_read_b64 v[63:64], v60
	s_waitcnt lgkmcnt(0)
	v_add_f64 v[63:64], v[63:64], -v[67:68]
	v_div_fixup_f64 v[23:24], v[25:26], v[23:24], v[61:62]
	v_fma_f64 v[25:26], v[23:24], v[63:64], v[67:68]
	ds_write_b64 v27, v[25:26]
	ds_read_b64 v[25:26], v30 offset:80
	ds_read_b64 v[27:28], v60 offset:80
	s_waitcnt lgkmcnt(0)
	v_add_f64 v[27:28], v[27:28], -v[25:26]
	v_fma_f64 v[23:24], v[23:24], v[27:28], v[25:26]
.LBB0_235:                              ;   in Loop: Header=BB0_230 Depth=2
	s_or_b32 exec_lo, exec_lo, s18
	v_add_nc_u32_e32 v29, -1, v29
	s_and_b32 s16, s16, exec_lo
                                        ; implicit-def: $vgpr25_vgpr26
                                        ; implicit-def: $vgpr60
	s_andn2_saveexec_b32 s17, s17
	s_cbranch_execz .LBB0_232
.LBB0_236:                              ;   in Loop: Header=BB0_230 Depth=2
	ds_read_b64 v[27:28], v30 offset:160
	s_mov_b32 s19, s16
	s_mov_b32 s18, exec_lo
                                        ; implicit-def: $vgpr23_vgpr24
	s_waitcnt lgkmcnt(0)
	v_cmpx_ge_f64_e32 v[27:28], v[35:36]
	s_cbranch_execz .LBB0_238
; %bb.237:                              ;   in Loop: Header=BB0_230 Depth=2
	v_add_f64 v[23:24], v[27:28], -v[25:26]
	v_add_f64 v[25:26], v[35:36], -v[25:26]
	v_lshl_add_u32 v67, v29, 3, v0
	s_or_b32 s19, s16, exec_lo
	ds_write_b64 v67, v[35:36] offset:160
	v_div_scale_f64 v[27:28], null, v[23:24], v[23:24], v[25:26]
	v_div_scale_f64 v[65:66], vcc_lo, v[25:26], v[23:24], v[25:26]
	v_rcp_f64_e32 v[61:62], v[27:28]
	v_fma_f64 v[63:64], -v[27:28], v[61:62], 1.0
	v_fma_f64 v[61:62], v[61:62], v[63:64], v[61:62]
	v_fma_f64 v[63:64], -v[27:28], v[61:62], 1.0
	v_fma_f64 v[61:62], v[61:62], v[63:64], v[61:62]
	v_mul_f64 v[63:64], v[65:66], v[61:62]
	v_fma_f64 v[27:28], -v[27:28], v[63:64], v[65:66]
	ds_read_b64 v[65:66], v60
	v_div_fmas_f64 v[27:28], v[27:28], v[61:62], v[63:64]
	ds_read_b64 v[61:62], v30
	s_waitcnt lgkmcnt(0)
	v_add_f64 v[61:62], v[61:62], -v[65:66]
	v_div_fixup_f64 v[23:24], v[27:28], v[23:24], v[25:26]
	v_fma_f64 v[25:26], v[23:24], v[61:62], v[65:66]
	ds_write_b64 v67, v[25:26]
	ds_read_b64 v[25:26], v60 offset:80
	ds_read_b64 v[27:28], v30 offset:80
	s_waitcnt lgkmcnt(0)
	v_add_f64 v[27:28], v[27:28], -v[25:26]
	v_fma_f64 v[23:24], v[23:24], v[27:28], v[25:26]
.LBB0_238:                              ;   in Loop: Header=BB0_230 Depth=2
	s_or_b32 exec_lo, exec_lo, s18
	s_andn2_b32 s16, s16, exec_lo
	s_and_b32 s18, s19, exec_lo
	s_or_b32 s16, s16, s18
	s_or_b32 exec_lo, exec_lo, s17
	s_and_saveexec_b32 s17, s16
	s_cbranch_execz .LBB0_229
.LBB0_239:                              ;   in Loop: Header=BB0_230 Depth=2
	v_lshl_add_u32 v25, v29, 3, v0
	v_add_nc_u32_e32 v29, -1, v29
	ds_write_b64 v25, v[23:24] offset:80
	s_branch .LBB0_229
.LBB0_240:                              ;   in Loop: Header=BB0_126 Depth=1
	s_or_b32 exec_lo, exec_lo, s15
.LBB0_241:                              ;   in Loop: Header=BB0_126 Depth=1
	s_or_b32 exec_lo, exec_lo, s14
	s_mov_b32 s14, exec_lo
	v_cmpx_gt_i32_e32 7, v29
	s_cbranch_execz .LBB0_247
; %bb.242:                              ;   in Loop: Header=BB0_126 Depth=1
	v_sub_nc_u32_e32 v68, 9, v29
	v_lshlrev_b32_e32 v60, 3, v29
	v_mov_b32_e32 v69, v54
	s_mov_b32 s15, 0
	v_mov_b32_e32 v19, v68
	v_add_nc_u32_e32 v21, v88, v60
	v_mov_b32_e32 v20, v69
.LBB0_243:                              ;   Parent Loop BB0_126 Depth=1
                                        ; =>  This Inner Loop Header: Depth=2
	v_add_co_u32 v19, vcc_lo, v19, -1
	v_add_co_ci_u32_e64 v20, null, -1, v20, vcc_lo
	ds_write_b64 v21, v[35:36]
	v_add_nc_u32_e32 v21, 8, v21
	v_cmp_eq_u64_e32 vcc_lo, 0, v[19:20]
	s_or_b32 s15, vcc_lo, s15
	s_andn2_b32 exec_lo, exec_lo, s15
	s_cbranch_execnz .LBB0_243
; %bb.244:                              ;   in Loop: Header=BB0_126 Depth=1
	s_or_b32 exec_lo, exec_lo, s15
	v_lshl_add_u32 v27, v29, 3, v0
	v_add_co_u32 v68, s15, v68, -2
	v_add_nc_u32_e32 v93, v89, v60
	v_mov_b32_e32 v60, 0
	ds_read2_b64 v[19:22], v27 offset0:1 offset1:2
	ds_read2_b64 v[23:26], v27 offset0:11 offset1:12
	;; [unrolled: 1-line block ×3, first 2 shown]
	v_mov_b32_e32 v62, 0
	v_mov_b32_e32 v64, 0
	;; [unrolled: 1-line block ×7, first 2 shown]
	v_add_co_ci_u32_e64 v69, null, 0, -1, s15
	s_mov_b32 s15, 0
.LBB0_245:                              ;   Parent Loop BB0_126 Depth=1
                                        ; =>  This Inner Loop Header: Depth=2
	ds_read2_b64 v[94:97], v93 offset1:10
	s_waitcnt lgkmcnt(1)
	v_add_f64 v[98:99], v[27:28], v[29:30]
	ds_read_b64 v[104:105], v93 offset:160
	v_add_f64 v[106:107], v[19:20], v[21:22]
	v_add_f64 v[108:109], v[19:20], -v[21:22]
	v_add_co_u32 v68, vcc_lo, v68, -1
	v_add_co_ci_u32_e64 v69, null, -1, v69, vcc_lo
	v_add_nc_u32_e32 v93, 8, v93
	v_cmp_eq_u64_e32 vcc_lo, 0, v[68:69]
	s_or_b32 s15, vcc_lo, s15
	s_waitcnt lgkmcnt(1)
	v_add_f64 v[100:101], v[25:26], v[96:97]
	v_add_f64 v[102:103], v[21:22], -v[94:95]
	v_add_f64 v[25:26], v[23:24], v[25:26]
	s_waitcnt lgkmcnt(0)
	v_add_f64 v[29:30], v[29:30], v[104:105]
	v_mul_f64 v[110:111], v[98:99], 0.5
	v_add_f64 v[21:22], v[21:22], v[94:95]
	v_add_f64 v[112:113], v[27:28], v[104:105]
	;; [unrolled: 1-line block ×3, first 2 shown]
	v_add_f64 v[116:117], v[94:95], -v[19:20]
	v_fma_f64 v[106:107], v[37:38], v[106:107], v[1:2]
	v_fma_f64 v[98:99], v[98:99], 0.5, 0
	v_mul_f64 v[102:103], v[102:103], v[100:101]
	v_fma_f64 v[118:119], v[39:40], v[25:26], v[5:6]
	v_mul_f64 v[120:121], v[29:30], 0.5
	v_fma_f64 v[122:123], v[110:111], 0.5, v[9:10]
	v_fma_f64 v[21:22], v[37:38], v[21:22], v[1:2]
	v_fma_f64 v[100:101], v[39:40], v[100:101], v[5:6]
	;; [unrolled: 1-line block ×3, first 2 shown]
	v_fma_f64 v[29:30], v[29:30], 0.5, v[98:99]
	v_fma_f64 v[25:26], v[108:109], v[25:26], v[102:103]
	v_add_f64 v[102:103], v[19:20], v[94:95]
	v_mul_f64 v[108:109], v[112:113], 0.5
	v_fma_f64 v[118:119], v[110:111], v[118:119], 0
	v_fma_f64 v[124:125], v[120:121], 0.5, v[9:10]
	v_fma_f64 v[110:111], v[110:111], v[122:123], 0
	v_fma_f64 v[21:22], v[21:22], v[120:121], v[106:107]
	v_fma_f64 v[29:30], v[112:113], 0.5, v[29:30]
	v_fma_f64 v[25:26], v[116:117], v[114:115], v[25:26]
	v_fma_f64 v[102:103], v[37:38], v[102:103], v[1:2]
	;; [unrolled: 1-line block ×3, first 2 shown]
	v_fma_f64 v[98:99], v[108:109], 0.5, v[9:10]
	v_fma_f64 v[100:101], v[120:121], v[100:101], v[118:119]
	v_fma_f64 v[106:107], v[120:121], v[124:125], v[110:111]
	v_mul_f64 v[25:26], v[25:26], 0.5
	v_fma_f64 v[21:22], v[102:103], v[108:109], v[21:22]
	v_fma_f64 v[100:101], v[108:109], v[114:115], v[100:101]
	;; [unrolled: 1-line block ×3, first 2 shown]
	v_mul_f64 v[25:26], v[25:26], s[10:11]
	v_fma_f64 v[60:61], v[29:30], v[25:26], v[60:61]
	v_fma_f64 v[62:63], v[25:26], v[21:22], v[62:63]
	;; [unrolled: 1-line block ×4, first 2 shown]
	v_mov_b32_e32 v21, v94
	v_mov_b32_e32 v25, v96
	;; [unrolled: 1-line block ×6, first 2 shown]
	s_andn2_b32 exec_lo, exec_lo, s15
	s_cbranch_execnz .LBB0_245
; %bb.246:                              ;   in Loop: Header=BB0_126 Depth=1
	s_or_b32 exec_lo, exec_lo, s15
	v_fma_f64 v[15:16], v[3:4], v[60:61], v[15:16]
	v_fma_f64 v[17:18], v[3:4], v[62:63], v[17:18]
	;; [unrolled: 1-line block ×4, first 2 shown]
.LBB0_247:                              ;   in Loop: Header=BB0_126 Depth=1
	s_or_b32 exec_lo, exec_lo, s14
	s_and_saveexec_b32 s14, s6
	s_cbranch_execz .LBB0_250
; %bb.248:                              ;   in Loop: Header=BB0_126 Depth=1
	v_mov_b32_e32 v19, v0
	s_mov_b32 s6, 16
	s_mov_b32 s15, 0
	.p2align	6
.LBB0_249:                              ;   Parent Loop BB0_126 Depth=1
                                        ; =>  This Inner Loop Header: Depth=2
	v_mov_b32_e32 v25, s6
	v_add_co_u32 v56, vcc_lo, v56, -1
	v_add_co_ci_u32_e64 v57, null, -1, v57, vcc_lo
	s_clause 0x5
	buffer_load_dword v20, v25, s[0:3], 0 offen
	buffer_load_dword v21, v25, s[0:3], 0 offen offset:4
	buffer_load_dword v23, v25, s[0:3], 0 offen offset:68
	;; [unrolled: 1-line block ×5, first 2 shown]
	s_add_i32 s6, s6, 8
	s_waitcnt vmcnt(1)
	ds_write2_b64 v19, v[20:21], v[22:23] offset1:10
	s_waitcnt vmcnt(0)
	ds_write_b64 v19, v[24:25] offset:160
	v_cmp_eq_u64_e32 vcc_lo, 0, v[56:57]
	v_add_nc_u32_e32 v19, 8, v19
	s_or_b32 s15, vcc_lo, s15
	s_andn2_b32 exec_lo, exec_lo, s15
	s_cbranch_execnz .LBB0_249
.LBB0_250:                              ;   in Loop: Header=BB0_126 Depth=1
	s_or_b32 exec_lo, exec_lo, s14
	v_mov_b32_e32 v19, 10
	v_mov_b32_e32 v20, 0
	s_and_saveexec_b32 s6, s13
	s_cbranch_execz .LBB0_264
; %bb.251:                              ;   in Loop: Header=BB0_126 Depth=1
	v_add_co_u32 v19, vcc_lo, v58, 1
	v_add_co_ci_u32_e64 v20, null, 0, v59, vcc_lo
	v_mov_b32_e32 v28, 9
	s_mov_b32 s13, 0
	v_mov_b32_e32 v21, 0
	v_mov_b32_e32 v22, 0
	s_branch .LBB0_253
.LBB0_252:                              ;   in Loop: Header=BB0_253 Depth=2
	s_or_b32 exec_lo, exec_lo, s15
	v_add_co_u32 v19, vcc_lo, v19, -1
	v_add_co_ci_u32_e64 v20, null, -1, v20, vcc_lo
	v_add_co_u32 v23, vcc_lo, v58, -1
	v_add_co_ci_u32_e64 v24, null, -1, v59, vcc_lo
	v_cmp_eq_u64_e32 vcc_lo, 0, v[19:20]
	v_mov_b32_e32 v21, v58
	v_mov_b32_e32 v22, v59
	;; [unrolled: 1-line block ×3, first 2 shown]
	v_add_nc_u32_e32 v55, -8, v55
	v_mov_b32_e32 v28, v26
	v_mov_b32_e32 v58, v23
	s_or_b32 s13, vcc_lo, s13
	s_andn2_b32 exec_lo, exec_lo, s13
	s_cbranch_execz .LBB0_263
.LBB0_253:                              ;   Parent Loop BB0_126 Depth=1
                                        ; =>  This Inner Loop Header: Depth=2
	v_lshl_add_u32 v29, v21, 3, v0
	s_mov_b32 s14, 0
	s_mov_b32 s15, exec_lo
                                        ; implicit-def: $vgpr22_vgpr23
                                        ; implicit-def: $vgpr30
	ds_read_b64 v[24:25], v29 offset:160
	s_waitcnt lgkmcnt(0)
	v_cmpx_nlt_f64_e32 v[24:25], v[35:36]
	s_xor_b32 s15, exec_lo, s15
	s_cbranch_execz .LBB0_257
; %bb.254:                              ;   in Loop: Header=BB0_253 Depth=2
	ds_read_b64 v[26:27], v55 offset:160
	s_mov_b32 s16, exec_lo
                                        ; implicit-def: $vgpr22_vgpr23
                                        ; implicit-def: $vgpr30
	s_waitcnt lgkmcnt(0)
	v_cmpx_lt_f64_e32 v[26:27], v[35:36]
	s_xor_b32 s16, exec_lo, s16
	s_cbranch_execz .LBB0_256
; %bb.255:                              ;   in Loop: Header=BB0_253 Depth=2
	v_add_f64 v[22:23], v[24:25], -v[26:27]
	v_add_f64 v[24:25], v[35:36], -v[26:27]
	s_mov_b32 s14, exec_lo
	v_div_scale_f64 v[26:27], null, v[22:23], v[22:23], v[24:25]
	v_div_scale_f64 v[62:63], vcc_lo, v[24:25], v[22:23], v[24:25]
	v_rcp_f64_e32 v[56:57], v[26:27]
	v_fma_f64 v[60:61], -v[26:27], v[56:57], 1.0
	v_fma_f64 v[56:57], v[56:57], v[60:61], v[56:57]
	v_fma_f64 v[60:61], -v[26:27], v[56:57], 1.0
	v_fma_f64 v[56:57], v[56:57], v[60:61], v[56:57]
	v_mul_f64 v[60:61], v[62:63], v[56:57]
	v_fma_f64 v[26:27], -v[26:27], v[60:61], v[62:63]
	v_lshl_add_u32 v62, v28, 3, v0
	ds_write_b64 v62, v[35:36] offset:160
	v_div_fmas_f64 v[26:27], v[26:27], v[56:57], v[60:61]
	ds_read_b64 v[56:57], v55
	ds_read_b64 v[29:30], v29
	v_div_fixup_f64 v[22:23], v[26:27], v[22:23], v[24:25]
	s_waitcnt lgkmcnt(0)
	v_add_f64 v[24:25], v[29:30], -v[56:57]
	v_add_nc_u32_e32 v30, 0x50, v55
	v_fma_f64 v[24:25], v[22:23], v[24:25], v[56:57]
	ds_write_b64 v62, v[24:25]
.LBB0_256:                              ;   in Loop: Header=BB0_253 Depth=2
	s_or_b32 exec_lo, exec_lo, s16
	s_and_b32 s14, s14, exec_lo
                                        ; implicit-def: $vgpr29
                                        ; implicit-def: $vgpr24_vgpr25
.LBB0_257:                              ;   in Loop: Header=BB0_253 Depth=2
	s_or_saveexec_b32 s15, s15
	v_mov_b32_e32 v27, -1
	v_mov_b32_e32 v26, v28
	s_xor_b32 exec_lo, exec_lo, s15
	s_cbranch_execz .LBB0_261
; %bb.258:                              ;   in Loop: Header=BB0_253 Depth=2
	v_lshl_add_u32 v26, v28, 3, v0
	s_mov_b32 s17, s14
	s_mov_b32 s16, exec_lo
	ds_write_b64 v26, v[24:25] offset:160
	ds_read_b64 v[21:22], v29
	s_waitcnt lgkmcnt(0)
	ds_write_b64 v26, v[21:22]
	ds_read_b64 v[21:22], v29 offset:80
	s_waitcnt lgkmcnt(0)
	ds_write_b64 v26, v[21:22] offset:80
	ds_read_b64 v[24:25], v55 offset:160
                                        ; implicit-def: $vgpr22_vgpr23
                                        ; implicit-def: $vgpr21
	s_waitcnt lgkmcnt(0)
	v_cmpx_ge_f64_e32 v[24:25], v[35:36]
	s_cbranch_execz .LBB0_260
; %bb.259:                              ;   in Loop: Header=BB0_253 Depth=2
	ds_read_b64 v[21:22], v29 offset:160
	ds_write_b64 v26, v[35:36] offset:152
	v_add_nc_u32_e32 v26, -8, v26
	s_or_b32 s17, s14, exec_lo
	s_waitcnt lgkmcnt(1)
	v_add_f64 v[23:24], v[24:25], -v[21:22]
	v_add_f64 v[21:22], v[35:36], -v[21:22]
	v_div_scale_f64 v[56:57], null, v[23:24], v[23:24], v[21:22]
	v_div_scale_f64 v[64:65], vcc_lo, v[21:22], v[23:24], v[21:22]
	v_rcp_f64_e32 v[60:61], v[56:57]
	v_fma_f64 v[62:63], -v[56:57], v[60:61], 1.0
	v_fma_f64 v[60:61], v[60:61], v[62:63], v[60:61]
	v_fma_f64 v[62:63], -v[56:57], v[60:61], 1.0
	v_fma_f64 v[60:61], v[60:61], v[62:63], v[60:61]
	v_mul_f64 v[62:63], v[64:65], v[60:61]
	v_fma_f64 v[56:57], -v[56:57], v[62:63], v[64:65]
	v_div_fmas_f64 v[56:57], v[56:57], v[60:61], v[62:63]
	ds_read_b64 v[60:61], v29
	ds_read_b64 v[62:63], v55
	v_div_fixup_f64 v[22:23], v[56:57], v[23:24], v[21:22]
	s_waitcnt lgkmcnt(0)
	v_add_f64 v[24:25], v[62:63], -v[60:61]
	v_mov_b32_e32 v21, v58
	v_fma_f64 v[24:25], v[22:23], v[24:25], v[60:61]
	ds_write_b64 v26, v[24:25]
.LBB0_260:                              ;   in Loop: Header=BB0_253 Depth=2
	s_or_b32 exec_lo, exec_lo, s16
	v_add_nc_u32_e32 v30, 0x50, v29
	v_add_nc_u32_e32 v26, -1, v28
	v_mov_b32_e32 v27, -2
	s_andn2_b32 s14, s14, exec_lo
	s_and_b32 s16, s17, exec_lo
	s_or_b32 s14, s14, s16
.LBB0_261:                              ;   in Loop: Header=BB0_253 Depth=2
	s_or_b32 exec_lo, exec_lo, s15
	s_and_saveexec_b32 s15, s14
	s_cbranch_execz .LBB0_252
; %bb.262:                              ;   in Loop: Header=BB0_253 Depth=2
	v_lshl_add_u32 v21, v21, 3, v0
	ds_read_b64 v[24:25], v30
	ds_read_b64 v[29:30], v21 offset:80
	s_waitcnt lgkmcnt(0)
	v_add_f64 v[29:30], v[29:30], -v[24:25]
	v_fma_f64 v[21:22], v[22:23], v[29:30], v[24:25]
	v_lshl_add_u32 v23, v26, 3, v0
	v_add_nc_u32_e32 v26, v27, v28
	ds_write_b64 v23, v[21:22] offset:80
	s_branch .LBB0_252
.LBB0_263:                              ;   in Loop: Header=BB0_126 Depth=1
	s_or_b32 exec_lo, exec_lo, s13
	v_add_nc_u32_e32 v19, 1, v26
	v_ashrrev_i32_e32 v20, 31, v19
.LBB0_264:                              ;   in Loop: Header=BB0_126 Depth=1
	s_or_b32 exec_lo, exec_lo, s6
	v_mov_b32_e32 v56, 0
	s_mov_b32 s6, exec_lo
	v_cmpx_ne_u64_e32 10, v[19:20]
	s_cbranch_execz .LBB0_278
; %bb.265:                              ;   in Loop: Header=BB0_126 Depth=1
	v_add_co_u32 v21, vcc_lo, v19, -10
	v_lshl_add_u32 v29, v19, 3, v0
	v_add_co_ci_u32_e64 v22, null, -1, v20, vcc_lo
	v_mov_b32_e32 v56, 0
	s_mov_b32 s13, 0
	v_mov_b32_e32 v23, 9
	v_mov_b32_e32 v24, 0
	s_branch .LBB0_267
.LBB0_266:                              ;   in Loop: Header=BB0_267 Depth=2
	s_or_b32 exec_lo, exec_lo, s15
	v_add_co_u32 v21, vcc_lo, v21, 1
	v_add_co_ci_u32_e64 v22, null, 0, v22, vcc_lo
	v_add_co_u32 v25, vcc_lo, v19, 1
	v_add_co_ci_u32_e64 v26, null, 0, v20, vcc_lo
	v_cmp_eq_u64_e32 vcc_lo, 0, v[21:22]
	v_mov_b32_e32 v24, v20
	v_mov_b32_e32 v23, v19
	;; [unrolled: 1-line block ×3, first 2 shown]
	v_add_nc_u32_e32 v29, 8, v29
	v_mov_b32_e32 v20, v26
	s_or_b32 s13, vcc_lo, s13
	s_andn2_b32 exec_lo, exec_lo, s13
	s_cbranch_execz .LBB0_277
.LBB0_267:                              ;   Parent Loop BB0_126 Depth=1
                                        ; =>  This Inner Loop Header: Depth=2
	v_lshl_add_u32 v30, v23, 3, v0
	s_mov_b32 s14, 0
	s_mov_b32 s15, exec_lo
                                        ; implicit-def: $vgpr23_vgpr24
	ds_read_b64 v[25:26], v30 offset:160
	s_waitcnt lgkmcnt(0)
	v_cmpx_le_f64_e32 0, v[25:26]
	s_xor_b32 s15, exec_lo, s15
	s_cbranch_execnz .LBB0_270
; %bb.268:                              ;   in Loop: Header=BB0_267 Depth=2
	s_andn2_saveexec_b32 s15, s15
	s_cbranch_execnz .LBB0_273
.LBB0_269:                              ;   in Loop: Header=BB0_267 Depth=2
	s_or_b32 exec_lo, exec_lo, s15
	s_and_saveexec_b32 s15, s14
	s_cbranch_execz .LBB0_266
	s_branch .LBB0_276
.LBB0_270:                              ;   in Loop: Header=BB0_267 Depth=2
	v_lshl_add_u32 v27, v56, 3, v0
	s_mov_b32 s16, exec_lo
	ds_write_b64 v27, v[25:26] offset:160
	ds_read_b64 v[23:24], v30
	s_waitcnt lgkmcnt(0)
	ds_write_b64 v27, v[23:24]
	ds_read_b64 v[23:24], v30 offset:80
	s_waitcnt lgkmcnt(0)
	ds_write_b64 v27, v[23:24] offset:80
	ds_read_b64 v[25:26], v29 offset:160
                                        ; implicit-def: $vgpr23_vgpr24
	s_waitcnt lgkmcnt(0)
	v_cmpx_gt_f64_e32 0, v[25:26]
	s_cbranch_execz .LBB0_272
; %bb.271:                              ;   in Loop: Header=BB0_267 Depth=2
	ds_read_b64 v[23:24], v30 offset:160
	v_add_f64 v[57:58], -v[25:26], 0
	v_mov_b32_e32 v55, v54
	s_mov_b32 s14, exec_lo
	ds_write_b64 v27, v[54:55] offset:168
	s_waitcnt lgkmcnt(1)
	v_add_f64 v[23:24], v[23:24], -v[25:26]
	v_div_scale_f64 v[25:26], null, v[23:24], v[23:24], v[57:58]
	v_div_scale_f64 v[63:64], vcc_lo, v[57:58], v[23:24], v[57:58]
	v_rcp_f64_e32 v[59:60], v[25:26]
	v_fma_f64 v[61:62], -v[25:26], v[59:60], 1.0
	v_fma_f64 v[59:60], v[59:60], v[61:62], v[59:60]
	v_fma_f64 v[61:62], -v[25:26], v[59:60], 1.0
	v_fma_f64 v[59:60], v[59:60], v[61:62], v[59:60]
	v_mul_f64 v[61:62], v[63:64], v[59:60]
	v_fma_f64 v[25:26], -v[25:26], v[61:62], v[63:64]
	ds_read_b64 v[63:64], v29
	v_div_fmas_f64 v[25:26], v[25:26], v[59:60], v[61:62]
	ds_read_b64 v[59:60], v30
	s_waitcnt lgkmcnt(0)
	v_add_f64 v[59:60], v[59:60], -v[63:64]
	v_div_fixup_f64 v[23:24], v[25:26], v[23:24], v[57:58]
	v_fma_f64 v[25:26], v[23:24], v[59:60], v[63:64]
	ds_write_b64 v27, v[25:26] offset:8
	ds_read_b64 v[25:26], v29 offset:80
	ds_read_b64 v[27:28], v30 offset:80
	s_waitcnt lgkmcnt(0)
	v_add_f64 v[27:28], v[27:28], -v[25:26]
	v_fma_f64 v[23:24], v[23:24], v[27:28], v[25:26]
.LBB0_272:                              ;   in Loop: Header=BB0_267 Depth=2
	s_or_b32 exec_lo, exec_lo, s16
	v_add_nc_u32_e32 v56, 1, v56
	s_and_b32 s14, s14, exec_lo
                                        ; implicit-def: $vgpr25_vgpr26
                                        ; implicit-def: $vgpr30
	s_andn2_saveexec_b32 s15, s15
	s_cbranch_execz .LBB0_269
.LBB0_273:                              ;   in Loop: Header=BB0_267 Depth=2
	ds_read_b64 v[27:28], v29 offset:160
	s_mov_b32 s17, s14
	s_mov_b32 s16, exec_lo
                                        ; implicit-def: $vgpr23_vgpr24
	s_waitcnt lgkmcnt(0)
	v_cmpx_le_f64_e32 0, v[27:28]
	s_cbranch_execz .LBB0_275
; %bb.274:                              ;   in Loop: Header=BB0_267 Depth=2
	v_add_f64 v[23:24], v[27:28], -v[25:26]
	v_add_f64 v[25:26], -v[25:26], 0
	v_lshl_add_u32 v63, v56, 3, v0
	v_mov_b32_e32 v55, v54
	s_or_b32 s17, s14, exec_lo
	ds_write_b64 v63, v[54:55] offset:160
	v_div_scale_f64 v[27:28], null, v[23:24], v[23:24], v[25:26]
	v_div_scale_f64 v[61:62], vcc_lo, v[25:26], v[23:24], v[25:26]
	v_rcp_f64_e32 v[57:58], v[27:28]
	v_fma_f64 v[59:60], -v[27:28], v[57:58], 1.0
	v_fma_f64 v[57:58], v[57:58], v[59:60], v[57:58]
	v_fma_f64 v[59:60], -v[27:28], v[57:58], 1.0
	v_fma_f64 v[57:58], v[57:58], v[59:60], v[57:58]
	v_mul_f64 v[59:60], v[61:62], v[57:58]
	v_fma_f64 v[27:28], -v[27:28], v[59:60], v[61:62]
	ds_read_b64 v[61:62], v30
	v_div_fmas_f64 v[27:28], v[27:28], v[57:58], v[59:60]
	ds_read_b64 v[57:58], v29
	s_waitcnt lgkmcnt(0)
	v_add_f64 v[57:58], v[57:58], -v[61:62]
	v_div_fixup_f64 v[23:24], v[27:28], v[23:24], v[25:26]
	v_fma_f64 v[25:26], v[23:24], v[57:58], v[61:62]
	ds_write_b64 v63, v[25:26]
	ds_read_b64 v[25:26], v30 offset:80
	ds_read_b64 v[27:28], v29 offset:80
	s_waitcnt lgkmcnt(0)
	v_add_f64 v[27:28], v[27:28], -v[25:26]
	v_fma_f64 v[23:24], v[23:24], v[27:28], v[25:26]
.LBB0_275:                              ;   in Loop: Header=BB0_267 Depth=2
	s_or_b32 exec_lo, exec_lo, s16
	s_andn2_b32 s14, s14, exec_lo
	s_and_b32 s16, s17, exec_lo
	s_or_b32 s14, s14, s16
	s_or_b32 exec_lo, exec_lo, s15
	s_and_saveexec_b32 s15, s14
	s_cbranch_execz .LBB0_266
.LBB0_276:                              ;   in Loop: Header=BB0_267 Depth=2
	v_lshl_add_u32 v25, v56, 3, v0
	v_add_nc_u32_e32 v56, 1, v56
	ds_write_b64 v25, v[23:24] offset:80
	s_branch .LBB0_266
.LBB0_277:                              ;   in Loop: Header=BB0_126 Depth=1
	s_or_b32 exec_lo, exec_lo, s13
.LBB0_278:                              ;   in Loop: Header=BB0_126 Depth=1
	s_or_b32 exec_lo, exec_lo, s6
	s_mov_b32 s6, exec_lo
	v_cmpx_lt_i32_e32 2, v56
	s_cbranch_execz .LBB0_125
; %bb.279:                              ;   in Loop: Header=BB0_126 Depth=1
	ds_read2_b64 v[19:22], v0 offset1:1
	ds_read2_b64 v[23:26], v0 offset0:10 offset1:11
	ds_read2_b64 v[27:30], v0 offset0:20 offset1:21
	v_add_co_u32 v55, s13, v56, -2
	v_mov_b32_e32 v57, 0
	v_mov_b32_e32 v59, 0
	;; [unrolled: 1-line block ×4, first 2 shown]
	v_add_co_ci_u32_e64 v56, null, 0, -1, s13
	v_mov_b32_e32 v58, 0
	v_mov_b32_e32 v60, 0
	;; [unrolled: 1-line block ×5, first 2 shown]
	s_mov_b32 s13, 0
.LBB0_280:                              ;   Parent Loop BB0_126 Depth=1
                                        ; =>  This Inner Loop Header: Depth=2
	ds_read2_b64 v[66:69], v65 offset1:10
	s_waitcnt lgkmcnt(1)
	v_add_f64 v[93:94], v[27:28], v[29:30]
	ds_read_b64 v[99:100], v65 offset:160
	v_add_f64 v[101:102], v[19:20], v[21:22]
	v_add_f64 v[103:104], v[19:20], -v[21:22]
	v_add_co_u32 v55, vcc_lo, v55, -1
	v_add_co_ci_u32_e64 v56, null, -1, v56, vcc_lo
	v_add_nc_u32_e32 v65, 8, v65
	v_cmp_eq_u64_e32 vcc_lo, 0, v[55:56]
	s_or_b32 s13, vcc_lo, s13
	s_waitcnt lgkmcnt(1)
	v_add_f64 v[95:96], v[25:26], v[68:69]
	v_add_f64 v[97:98], v[21:22], -v[66:67]
	v_add_f64 v[25:26], v[23:24], v[25:26]
	s_waitcnt lgkmcnt(0)
	v_add_f64 v[29:30], v[29:30], v[99:100]
	v_mul_f64 v[105:106], v[93:94], 0.5
	v_add_f64 v[21:22], v[21:22], v[66:67]
	v_add_f64 v[107:108], v[27:28], v[99:100]
	;; [unrolled: 1-line block ×3, first 2 shown]
	v_add_f64 v[111:112], v[66:67], -v[19:20]
	v_fma_f64 v[101:102], v[37:38], v[101:102], v[1:2]
	v_fma_f64 v[93:94], v[93:94], 0.5, 0
	v_mul_f64 v[97:98], v[97:98], v[95:96]
	v_fma_f64 v[113:114], v[39:40], v[25:26], v[5:6]
	v_mul_f64 v[115:116], v[29:30], 0.5
	v_fma_f64 v[117:118], v[105:106], 0.5, v[9:10]
	v_fma_f64 v[21:22], v[37:38], v[21:22], v[1:2]
	v_fma_f64 v[95:96], v[39:40], v[95:96], v[5:6]
	;; [unrolled: 1-line block ×3, first 2 shown]
	v_fma_f64 v[29:30], v[29:30], 0.5, v[93:94]
	v_fma_f64 v[25:26], v[103:104], v[25:26], v[97:98]
	v_add_f64 v[97:98], v[19:20], v[66:67]
	v_mul_f64 v[103:104], v[107:108], 0.5
	v_fma_f64 v[113:114], v[105:106], v[113:114], 0
	v_fma_f64 v[119:120], v[115:116], 0.5, v[9:10]
	v_fma_f64 v[105:106], v[105:106], v[117:118], 0
	v_fma_f64 v[21:22], v[21:22], v[115:116], v[101:102]
	v_fma_f64 v[29:30], v[107:108], 0.5, v[29:30]
	v_fma_f64 v[25:26], v[111:112], v[109:110], v[25:26]
	v_fma_f64 v[97:98], v[37:38], v[97:98], v[1:2]
	;; [unrolled: 1-line block ×3, first 2 shown]
	v_fma_f64 v[93:94], v[103:104], 0.5, v[9:10]
	v_fma_f64 v[95:96], v[115:116], v[95:96], v[113:114]
	v_fma_f64 v[101:102], v[115:116], v[119:120], v[105:106]
	v_mul_f64 v[25:26], v[25:26], 0.5
	v_fma_f64 v[21:22], v[97:98], v[103:104], v[21:22]
	v_fma_f64 v[95:96], v[103:104], v[109:110], v[95:96]
	;; [unrolled: 1-line block ×3, first 2 shown]
	v_mul_f64 v[25:26], v[25:26], s[10:11]
	v_fma_f64 v[57:58], v[29:30], v[25:26], v[57:58]
	v_fma_f64 v[59:60], v[25:26], v[21:22], v[59:60]
	;; [unrolled: 1-line block ×4, first 2 shown]
	v_mov_b32_e32 v21, v66
	v_mov_b32_e32 v25, v68
	;; [unrolled: 1-line block ×6, first 2 shown]
	s_andn2_b32 exec_lo, exec_lo, s13
	s_cbranch_execnz .LBB0_280
; %bb.281:                              ;   in Loop: Header=BB0_126 Depth=1
	s_or_b32 exec_lo, exec_lo, s13
	v_fma_f64 v[15:16], v[3:4], v[57:58], v[15:16]
	v_fma_f64 v[17:18], v[3:4], v[59:60], v[17:18]
	;; [unrolled: 1-line block ×4, first 2 shown]
	s_branch .LBB0_125
.LBB0_282:
	s_or_b32 exec_lo, exec_lo, s12
.LBB0_283:
	s_or_b32 exec_lo, exec_lo, s7
	buffer_load_dword v19, off, s[0:3], 0 offset:4
	v_perm_b32 v25, v44, v82, 0xc0c0004
	v_perm_b32 v44, v77, v47, 0xc0c0004
	;; [unrolled: 1-line block ×5, first 2 shown]
	v_lshlrev_b16 v45, 8, v75
	v_lshlrev_b32_e32 v44, 16, v44
	v_perm_b32 v24, v50, v51, 0xc0c0004
	v_lshl_or_b32 v20, v23, 16, v22
	v_lshrrev_b32_e32 v51, 8, v22
	v_lshlrev_b16 v21, 8, v73
	v_or_b32_e32 v42, v42, v44
	v_or_b32_sdwa v44, v45, v44 dst_sel:DWORD dst_unused:UNUSED_PAD src0_sel:WORD_0 src1_sel:DWORD
	v_and_b32_e32 v48, 0xff, v48
	v_lshrrev_b32_e32 v23, 8, v23
	v_or_b32_sdwa v41, v41, v21 dst_sel:DWORD dst_unused:UNUSED_PAD src0_sel:BYTE_0 src1_sel:DWORD
	v_perm_b32 v27, v71, v49, 0xc0c0004
	v_and_b32_e32 v49, 0xff, v50
	v_lshrrev_b32_e32 v52, 8, v24
	v_perm_b32 v26, v70, v79, 0xc0c0004
	v_and_b32_e32 v55, 0xffff, v41
	v_lshrrev_b32_e32 v50, 8, v25
	v_lshlrev_b16 v28, 8, v80
	v_and_b32_e32 v47, 0xff, v70
	v_lshl_or_b32 v21, v26, 16, v25
	v_lshrrev_b32_e32 v45, 8, v55
	v_lshrrev_b32_e32 v26, 8, v26
	v_or_b32_sdwa v28, v43, v28 dst_sel:DWORD dst_unused:UNUSED_PAD src0_sel:BYTE_0 src1_sel:DWORD
	v_perm_b32 v30, v78, v76, 0xc0c0004
	v_lshl_or_b32 v24, v24, 16, v55
	v_perm_b32 v29, v46, v81, 0xc0c0004
	v_and_b32_e32 v46, 0xff, v71
	v_and_b32_e32 v56, 0xffff, v28
	v_lshlrev_b32_e32 v43, 16, v30
	v_lshrrev_b32_e32 v53, 8, v27
	v_bfe_u32 v54, v30, 8, 8
	s_mov_b32 s11, 0
	v_lshrrev_b32_e32 v55, 8, v56
	v_or_b32_e32 v43, v29, v43
	v_lshl_or_b32 v27, v27, 16, v56
	s_mov_b32 s10, exec_lo
	v_lshrrev_b32_e32 v56, 8, v43
	s_waitcnt vmcnt(0)
	v_and_b32_e32 v57, 1, v19
	v_bfe_u32 v59, v19, 1, 1
	v_and_b32_e32 v58, 2, v19
	v_bfe_u32 v61, v19, 2, 1
	v_bfe_u32 v63, v19, 3, 1
	v_cmp_ne_u32_e64 s6, 20, v57
	v_cmp_eq_u32_e32 vcc_lo, 0, v57
	v_bfe_u32 v65, v19, 4, 1
	v_and_b32_e32 v60, 4, v19
	v_and_b32_e32 v62, 8, v19
	v_cndmask_b32_e64 v22, 1, v22, s6
	v_cmp_ne_u32_e64 s6, 21, v57
	v_cndmask_b32_e32 v42, v44, v42, vcc_lo
	v_and_b32_e32 v64, 16, v19
	v_cndmask_b32_e64 v44, 1, v51, s6
	v_cmp_ne_u32_e64 s6, 22, v57
	v_lshrrev_b32_e32 v66, 8, v42
	v_lshrrev_b32_e32 v67, 24, v42
	;; [unrolled: 1-line block ×3, first 2 shown]
	v_lshlrev_b16 v44, 8, v44
	v_cndmask_b32_e64 v48, 1, v48, s6
	v_cmp_ne_u32_e64 s6, 23, v57
	v_or_b32_sdwa v22, v22, v44 dst_sel:DWORD dst_unused:UNUSED_PAD src0_sel:BYTE_0 src1_sel:DWORD
	v_cndmask_b32_e64 v23, 1, v23, s6
	v_cmp_ne_u32_e64 s6, 16, v57
	v_lshlrev_b16 v23, 8, v23
	v_cndmask_b32_e64 v41, 1, v41, s6
	v_cmp_ne_u32_e64 s6, 17, v57
	v_or_b32_sdwa v23, v48, v23 dst_sel:WORD_1 dst_unused:UNUSED_PAD src0_sel:DWORD src1_sel:DWORD
	v_cndmask_b32_e64 v45, 1, v45, s6
	v_cmp_ne_u32_e64 s6, 18, v57
	v_or_b32_sdwa v22, v22, v23 dst_sel:DWORD dst_unused:UNUSED_PAD src0_sel:WORD_0 src1_sel:DWORD
	v_lshlrev_b16 v45, 8, v45
	v_cndmask_b32_e64 v49, 1, v49, s6
	v_cmp_ne_u32_e64 s6, 19, v57
	v_or_b32_sdwa v41, v41, v45 dst_sel:DWORD dst_unused:UNUSED_PAD src0_sel:BYTE_0 src1_sel:DWORD
	v_cndmask_b32_e64 v51, 1, v52, s6
	v_cmp_ne_u32_e64 s6, 12, v57
	v_lshlrev_b16 v51, 8, v51
	v_cndmask_b32_e64 v25, 1, v25, s6
	v_cmp_ne_u32_e64 s6, 13, v57
	v_or_b32_sdwa v44, v49, v51 dst_sel:WORD_1 dst_unused:UNUSED_PAD src0_sel:DWORD src1_sel:DWORD
	v_cndmask_b32_e64 v50, 1, v50, s6
	v_cmp_ne_u32_e64 s6, 14, v57
	v_or_b32_sdwa v23, v41, v44 dst_sel:DWORD dst_unused:UNUSED_PAD src0_sel:WORD_0 src1_sel:DWORD
	;; [unrolled: 13-line block ×3, first 2 shown]
	v_lshlrev_b16 v52, 8, v52
	v_cndmask_b32_e64 v46, 1, v46, s6
	v_cmp_ne_u32_e64 s6, 11, v57
	v_or_b32_sdwa v28, v28, v52 dst_sel:DWORD dst_unused:UNUSED_PAD src0_sel:BYTE_0 src1_sel:DWORD
	v_cndmask_b32_e64 v53, 1, v53, s6
	v_cmp_ne_u32_e64 s6, 5, v57
	v_lshlrev_b16 v53, 8, v53
	v_cndmask_b32_e64 v55, 1, v56, s6
	v_cmp_ne_u32_e64 s6, 4, v57
	v_add_nc_u32_e32 v56, v59, v57
	v_cndmask_b32_e64 v59, v42, 1, vcc_lo
	v_cmp_eq_u32_e32 vcc_lo, 1, v57
	v_lshlrev_b16 v55, 8, v55
	v_cndmask_b32_e64 v29, 1, v29, s6
	v_cmp_ne_u32_e64 s6, 6, v57
	v_or_b32_sdwa v46, v46, v53 dst_sel:WORD_1 dst_unused:UNUSED_PAD src0_sel:DWORD src1_sel:DWORD
	v_cndmask_b32_e64 v66, v66, 1, vcc_lo
	v_cmp_ne_u32_e32 vcc_lo, 3, v57
	v_or_b32_sdwa v29, v29, v55 dst_sel:DWORD dst_unused:UNUSED_PAD src0_sel:BYTE_0 src1_sel:DWORD
	v_cndmask_b32_e64 v30, 1, v30, s6
	v_cmp_ne_u32_e64 s6, 7, v57
	v_lshlrev_b16 v45, 8, v66
	v_cndmask_b32_e32 v67, 1, v67, vcc_lo
	v_cmp_ne_u32_e32 vcc_lo, 2, v57
	v_or_b32_sdwa v28, v28, v46 dst_sel:DWORD dst_unused:UNUSED_PAD src0_sel:WORD_0 src1_sel:DWORD
	v_cndmask_b32_e64 v54, 1, v54, s6
	v_or_b32_sdwa v45, v59, v45 dst_sel:DWORD dst_unused:UNUSED_PAD src0_sel:BYTE_0 src1_sel:DWORD
	v_lshlrev_b16 v47, 8, v67
	v_cndmask_b32_e32 v57, 1, v68, vcc_lo
	v_cmp_eq_u32_e32 vcc_lo, 0, v58
	v_lshlrev_b16 v54, 8, v54
	v_add_nc_u32_e32 v61, v56, v61
	v_or_b32_sdwa v47, v57, v47 dst_sel:WORD_1 dst_unused:UNUSED_PAD src0_sel:BYTE_0 src1_sel:DWORD
	v_cndmask_b32_e32 v27, v28, v27, vcc_lo
	v_or_b32_sdwa v30, v30, v54 dst_sel:WORD_1 dst_unused:UNUSED_PAD src0_sel:BYTE_0 src1_sel:DWORD
	v_cndmask_b32_e32 v21, v25, v21, vcc_lo
	v_cndmask_b32_e32 v23, v23, v24, vcc_lo
	;; [unrolled: 1-line block ×3, first 2 shown]
	v_lshrrev_b32_e32 v55, 8, v27
	v_or_b32_sdwa v29, v29, v30 dst_sel:DWORD dst_unused:UNUSED_PAD src0_sel:WORD_0 src1_sel:DWORD
	v_or_b32_sdwa v30, v45, v47 dst_sel:DWORD dst_unused:UNUSED_PAD src0_sel:WORD_0 src1_sel:DWORD
	v_lshrrev_b32_e32 v46, 8, v23
	v_lshrrev_b32_e32 v44, 16, v20
	;; [unrolled: 1-line block ×3, first 2 shown]
	v_cndmask_b32_e32 v29, v29, v43, vcc_lo
	v_cndmask_b32_e32 v30, v30, v42, vcc_lo
	v_cmp_ne_u32_e32 vcc_lo, 0, v56
	v_lshrrev_b32_e32 v42, 8, v20
	v_lshrrev_b32_e32 v43, 24, v20
	;; [unrolled: 1-line block ×4, first 2 shown]
	v_cndmask_b32_e32 v22, 2, v30, vcc_lo
	v_cmp_ne_u32_e32 vcc_lo, 20, v56
	v_lshrrev_b32_e32 v25, 24, v30
	v_lshrrev_b32_e32 v28, 16, v30
	;; [unrolled: 1-line block ×4, first 2 shown]
	v_cndmask_b32_e32 v41, 2, v20, vcc_lo
	v_cmp_ne_u32_e32 vcc_lo, 16, v56
	v_lshrrev_b32_e32 v53, 16, v21
	v_lshrrev_b32_e32 v57, 24, v27
	;; [unrolled: 1-line block ×3, first 2 shown]
	v_add_nc_u32_e32 v48, v61, v63
	v_cndmask_b32_e32 v45, 2, v23, vcc_lo
	v_cmp_ne_u32_e32 vcc_lo, 12, v56
	v_lshrrev_b32_e32 v63, 8, v29
	v_lshrrev_b32_e32 v66, 16, v29
	v_add_nc_u32_e32 v26, v48, v65
	v_lshrrev_b32_e32 v65, 24, v29
	v_cndmask_b32_e32 v50, 2, v21, vcc_lo
	v_cmp_ne_u32_e32 vcc_lo, 8, v56
	v_cndmask_b32_e32 v54, 2, v27, vcc_lo
	v_cmp_ne_u32_e32 vcc_lo, 4, v56
	v_cndmask_b32_e32 v59, 2, v29, vcc_lo
	v_cmp_ne_u32_e32 vcc_lo, 1, v56
	v_cndmask_b32_e32 v24, 2, v24, vcc_lo
	v_cmp_ne_u32_e32 vcc_lo, 3, v56
	v_lshlrev_b16 v24, 8, v24
	v_cndmask_b32_e32 v25, 2, v25, vcc_lo
	v_cmp_ne_u32_e32 vcc_lo, 2, v56
	v_or_b32_sdwa v22, v22, v24 dst_sel:DWORD dst_unused:UNUSED_PAD src0_sel:BYTE_0 src1_sel:DWORD
	v_lshlrev_b16 v25, 8, v25
	v_cndmask_b32_e32 v28, 2, v28, vcc_lo
	v_cmp_ne_u32_e32 vcc_lo, 21, v56
	v_or_b32_sdwa v24, v28, v25 dst_sel:WORD_1 dst_unused:UNUSED_PAD src0_sel:BYTE_0 src1_sel:DWORD
	v_cndmask_b32_e32 v42, 2, v42, vcc_lo
	v_cmp_ne_u32_e32 vcc_lo, 23, v56
	v_or_b32_sdwa v22, v22, v24 dst_sel:DWORD dst_unused:UNUSED_PAD src0_sel:WORD_0 src1_sel:DWORD
	v_lshlrev_b16 v42, 8, v42
	v_cndmask_b32_e32 v43, 2, v43, vcc_lo
	v_cmp_ne_u32_e32 vcc_lo, 22, v56
	v_or_b32_sdwa v25, v41, v42 dst_sel:DWORD dst_unused:UNUSED_PAD src0_sel:BYTE_0 src1_sel:DWORD
	v_lshlrev_b16 v43, 8, v43
	v_cndmask_b32_e32 v44, 2, v44, vcc_lo
	v_cmp_ne_u32_e32 vcc_lo, 17, v56
	v_or_b32_sdwa v28, v44, v43 dst_sel:WORD_1 dst_unused:UNUSED_PAD src0_sel:BYTE_0 src1_sel:DWORD
	v_cndmask_b32_e32 v46, 2, v46, vcc_lo
	v_cmp_ne_u32_e32 vcc_lo, 19, v56
	v_or_b32_sdwa v24, v25, v28 dst_sel:DWORD dst_unused:UNUSED_PAD src0_sel:WORD_0 src1_sel:DWORD
	;; [unrolled: 11-line block ×5, first 2 shown]
	v_lshlrev_b16 v63, 8, v63
	v_cndmask_b32_e32 v65, 2, v65, vcc_lo
	v_cmp_ne_u32_e32 vcc_lo, 6, v56
	v_or_b32_sdwa v46, v59, v63 dst_sel:DWORD dst_unused:UNUSED_PAD src0_sel:BYTE_0 src1_sel:DWORD
	v_lshlrev_b16 v65, 8, v65
	v_cndmask_b32_e32 v56, 2, v66, vcc_lo
	v_cmp_eq_u32_e32 vcc_lo, 0, v60
	v_or_b32_sdwa v47, v56, v65 dst_sel:WORD_1 dst_unused:UNUSED_PAD src0_sel:BYTE_0 src1_sel:DWORD
	v_cndmask_b32_e32 v22, v22, v30, vcc_lo
	v_cndmask_b32_e32 v27, v28, v27, vcc_lo
	v_cndmask_b32_e32 v21, v43, v21, vcc_lo
	v_cndmask_b32_e32 v23, v41, v23, vcc_lo
	v_or_b32_sdwa v25, v46, v47 dst_sel:DWORD dst_unused:UNUSED_PAD src0_sel:WORD_0 src1_sel:DWORD
	v_cndmask_b32_e32 v20, v24, v20, vcc_lo
	v_lshrrev_b32_e32 v28, 8, v22
	v_lshrrev_b32_e32 v30, 16, v22
	v_lshrrev_b32_e32 v46, 8, v23
	v_cndmask_b32_e32 v25, v25, v29, vcc_lo
	v_cmp_ne_u32_e32 vcc_lo, 0, v61
	v_lshrrev_b32_e32 v29, 24, v22
	v_lshrrev_b32_e32 v42, 8, v20
	v_lshrrev_b32_e32 v43, 24, v20
	v_lshrrev_b32_e32 v44, 16, v20
	v_cndmask_b32_e32 v24, 3, v22, vcc_lo
	v_cmp_ne_u32_e32 vcc_lo, 20, v61
	v_lshrrev_b32_e32 v47, 24, v23
	;; [unrolled: 6-line block ×4, first 2 shown]
	v_lshrrev_b32_e32 v60, 24, v25
	v_lshrrev_b32_e32 v63, 16, v25
	v_cndmask_b32_e32 v50, 3, v21, vcc_lo
	v_cmp_ne_u32_e32 vcc_lo, 8, v61
	v_cndmask_b32_e32 v54, 3, v27, vcc_lo
	v_cmp_ne_u32_e32 vcc_lo, 4, v61
	;; [unrolled: 2-line block ×4, first 2 shown]
	v_lshlrev_b16 v28, 8, v28
	v_cndmask_b32_e32 v29, 3, v29, vcc_lo
	v_cmp_ne_u32_e32 vcc_lo, 2, v61
	v_or_b32_sdwa v24, v24, v28 dst_sel:DWORD dst_unused:UNUSED_PAD src0_sel:BYTE_0 src1_sel:DWORD
	v_lshlrev_b16 v29, 8, v29
	v_cndmask_b32_e32 v30, 3, v30, vcc_lo
	v_cmp_ne_u32_e32 vcc_lo, 21, v61
	v_or_b32_sdwa v28, v30, v29 dst_sel:WORD_1 dst_unused:UNUSED_PAD src0_sel:BYTE_0 src1_sel:DWORD
	v_cndmask_b32_e32 v42, 3, v42, vcc_lo
	v_cmp_ne_u32_e32 vcc_lo, 23, v61
	v_or_b32_sdwa v24, v24, v28 dst_sel:DWORD dst_unused:UNUSED_PAD src0_sel:WORD_0 src1_sel:DWORD
	v_lshlrev_b16 v42, 8, v42
	v_cndmask_b32_e32 v43, 3, v43, vcc_lo
	v_cmp_ne_u32_e32 vcc_lo, 22, v61
	v_or_b32_sdwa v29, v41, v42 dst_sel:DWORD dst_unused:UNUSED_PAD src0_sel:BYTE_0 src1_sel:DWORD
	v_lshlrev_b16 v43, 8, v43
	v_cndmask_b32_e32 v44, 3, v44, vcc_lo
	v_cmp_ne_u32_e32 vcc_lo, 17, v61
	v_or_b32_sdwa v30, v44, v43 dst_sel:WORD_1 dst_unused:UNUSED_PAD src0_sel:BYTE_0 src1_sel:DWORD
	v_cndmask_b32_e32 v46, 3, v46, vcc_lo
	v_cmp_ne_u32_e32 vcc_lo, 19, v61
	v_or_b32_sdwa v28, v29, v30 dst_sel:DWORD dst_unused:UNUSED_PAD src0_sel:WORD_0 src1_sel:DWORD
	;; [unrolled: 11-line block ×5, first 2 shown]
	v_lshlrev_b16 v59, 8, v59
	v_cndmask_b32_e32 v60, 3, v60, vcc_lo
	v_cmp_ne_u32_e32 vcc_lo, 6, v61
	v_or_b32_sdwa v46, v58, v59 dst_sel:DWORD dst_unused:UNUSED_PAD src0_sel:BYTE_0 src1_sel:DWORD
	v_lshlrev_b16 v60, 8, v60
	v_cndmask_b32_e32 v61, 3, v63, vcc_lo
	v_cmp_eq_u32_e32 vcc_lo, 0, v62
	v_or_b32_sdwa v47, v61, v60 dst_sel:WORD_1 dst_unused:UNUSED_PAD src0_sel:BYTE_0 src1_sel:DWORD
	v_cndmask_b32_e32 v22, v24, v22, vcc_lo
	v_cndmask_b32_e32 v21, v43, v21, vcc_lo
	;; [unrolled: 1-line block ×4, first 2 shown]
	v_or_b32_sdwa v29, v46, v47 dst_sel:DWORD dst_unused:UNUSED_PAD src0_sel:WORD_0 src1_sel:DWORD
	v_lshrrev_b32_e32 v28, 8, v22
	v_lshrrev_b32_e32 v51, 8, v21
	;; [unrolled: 1-line block ×4, first 2 shown]
	v_cndmask_b32_e32 v24, v29, v25, vcc_lo
	v_cndmask_b32_e32 v25, v30, v27, vcc_lo
	v_cmp_ne_u32_e32 vcc_lo, 0, v48
	v_lshrrev_b32_e32 v29, 24, v22
	v_lshrrev_b32_e32 v30, 16, v22
	v_lshrrev_b32_e32 v43, 24, v20
	v_lshrrev_b32_e32 v44, 16, v20
	v_cndmask_b32_e32 v27, 4, v22, vcc_lo
	v_cmp_ne_u32_e32 vcc_lo, 20, v48
	v_lshrrev_b32_e32 v47, 24, v23
	v_lshrrev_b32_e32 v49, 16, v23
	v_lshrrev_b32_e32 v52, 24, v21
	v_lshrrev_b32_e32 v53, 16, v21
	;; [unrolled: 6-line block ×3, first 2 shown]
	v_cndmask_b32_e32 v45, 4, v23, vcc_lo
	v_cmp_ne_u32_e32 vcc_lo, 12, v48
	v_lshrrev_b32_e32 v60, 24, v24
	v_lshrrev_b32_e32 v61, 16, v24
	v_cndmask_b32_e32 v50, 4, v21, vcc_lo
	v_cmp_ne_u32_e32 vcc_lo, 8, v48
	v_cndmask_b32_e32 v54, 4, v25, vcc_lo
	v_cmp_ne_u32_e32 vcc_lo, 4, v48
	;; [unrolled: 2-line block ×4, first 2 shown]
	v_lshlrev_b16 v28, 8, v28
	v_cndmask_b32_e32 v29, 4, v29, vcc_lo
	v_cmp_ne_u32_e32 vcc_lo, 2, v48
	v_or_b32_sdwa v27, v27, v28 dst_sel:DWORD dst_unused:UNUSED_PAD src0_sel:BYTE_0 src1_sel:DWORD
	v_lshlrev_b16 v29, 8, v29
	v_cndmask_b32_e32 v30, 4, v30, vcc_lo
	v_cmp_ne_u32_e32 vcc_lo, 21, v48
	v_or_b32_sdwa v28, v30, v29 dst_sel:WORD_1 dst_unused:UNUSED_PAD src0_sel:BYTE_0 src1_sel:DWORD
	v_cndmask_b32_e32 v42, 4, v42, vcc_lo
	v_cmp_ne_u32_e32 vcc_lo, 23, v48
	v_or_b32_sdwa v27, v27, v28 dst_sel:DWORD dst_unused:UNUSED_PAD src0_sel:WORD_0 src1_sel:DWORD
	v_lshlrev_b16 v42, 8, v42
	v_cndmask_b32_e32 v43, 4, v43, vcc_lo
	v_cmp_ne_u32_e32 vcc_lo, 22, v48
	v_or_b32_sdwa v29, v41, v42 dst_sel:DWORD dst_unused:UNUSED_PAD src0_sel:BYTE_0 src1_sel:DWORD
	v_lshlrev_b16 v43, 8, v43
	v_cndmask_b32_e32 v44, 4, v44, vcc_lo
	v_cmp_ne_u32_e32 vcc_lo, 17, v48
	v_or_b32_sdwa v30, v44, v43 dst_sel:WORD_1 dst_unused:UNUSED_PAD src0_sel:BYTE_0 src1_sel:DWORD
	v_cndmask_b32_e32 v46, 4, v46, vcc_lo
	v_cmp_ne_u32_e32 vcc_lo, 19, v48
	v_or_b32_sdwa v28, v29, v30 dst_sel:DWORD dst_unused:UNUSED_PAD src0_sel:WORD_0 src1_sel:DWORD
	v_lshlrev_b16 v46, 8, v46
	v_cndmask_b32_e32 v47, 4, v47, vcc_lo
	v_cmp_ne_u32_e32 vcc_lo, 18, v48
	v_or_b32_sdwa v41, v45, v46 dst_sel:DWORD dst_unused:UNUSED_PAD src0_sel:BYTE_0 src1_sel:DWORD
	v_lshlrev_b16 v47, 8, v47
	v_cndmask_b32_e32 v49, 4, v49, vcc_lo
	v_cmp_ne_u32_e32 vcc_lo, 13, v48
	v_or_b32_sdwa v42, v49, v47 dst_sel:WORD_1 dst_unused:UNUSED_PAD src0_sel:BYTE_0 src1_sel:DWORD
	v_cndmask_b32_e32 v51, 4, v51, vcc_lo
	v_cmp_ne_u32_e32 vcc_lo, 15, v48
	v_lshlrev_b16 v51, 8, v51
	v_cndmask_b32_e32 v52, 4, v52, vcc_lo
	v_cmp_ne_u32_e32 vcc_lo, 14, v48
	v_or_b32_sdwa v43, v50, v51 dst_sel:DWORD dst_unused:UNUSED_PAD src0_sel:BYTE_0 src1_sel:DWORD
	v_lshlrev_b16 v52, 8, v52
	v_cndmask_b32_e32 v53, 4, v53, vcc_lo
	v_cmp_ne_u32_e32 vcc_lo, 9, v48
	v_or_b32_sdwa v44, v53, v52 dst_sel:WORD_1 dst_unused:UNUSED_PAD src0_sel:BYTE_0 src1_sel:DWORD
	v_cndmask_b32_e32 v55, 4, v55, vcc_lo
	v_cmp_ne_u32_e32 vcc_lo, 11, v48
	v_or_b32_sdwa v43, v43, v44 dst_sel:DWORD dst_unused:UNUSED_PAD src0_sel:WORD_0 src1_sel:DWORD
	v_lshlrev_b16 v55, 8, v55
	v_cndmask_b32_e32 v56, 4, v56, vcc_lo
	v_cmp_ne_u32_e32 vcc_lo, 10, v48
	v_or_b32_sdwa v45, v54, v55 dst_sel:DWORD dst_unused:UNUSED_PAD src0_sel:BYTE_0 src1_sel:DWORD
	v_lshlrev_b16 v56, 8, v56
	v_cndmask_b32_e32 v57, 4, v57, vcc_lo
	v_cmp_ne_u32_e32 vcc_lo, 5, v48
	v_cndmask_b32_e32 v59, 4, v59, vcc_lo
	v_cmp_ne_u32_e32 vcc_lo, 7, v48
	v_lshlrev_b16 v59, 8, v59
	v_cndmask_b32_e32 v60, 4, v60, vcc_lo
	v_cmp_ne_u32_e32 vcc_lo, 6, v48
	v_or_b32_sdwa v46, v58, v59 dst_sel:DWORD dst_unused:UNUSED_PAD src0_sel:BYTE_0 src1_sel:DWORD
	v_lshlrev_b16 v60, 8, v60
	v_cndmask_b32_e32 v48, 4, v61, vcc_lo
	v_cmp_eq_u32_e32 vcc_lo, 0, v64
	v_or_b32_sdwa v47, v48, v60 dst_sel:WORD_1 dst_unused:UNUSED_PAD src0_sel:BYTE_0 src1_sel:DWORD
	v_or_b32_sdwa v48, v57, v56 dst_sel:WORD_1 dst_unused:UNUSED_PAD src0_sel:BYTE_0 src1_sel:DWORD
	v_cndmask_b32_e32 v22, v27, v22, vcc_lo
	v_or_b32_sdwa v27, v41, v42 dst_sel:DWORD dst_unused:UNUSED_PAD src0_sel:WORD_0 src1_sel:DWORD
	v_cndmask_b32_e32 v21, v43, v21, vcc_lo
	v_or_b32_sdwa v29, v46, v47 dst_sel:DWORD dst_unused:UNUSED_PAD src0_sel:WORD_0 src1_sel:DWORD
	v_or_b32_sdwa v30, v45, v48 dst_sel:DWORD dst_unused:UNUSED_PAD src0_sel:WORD_0 src1_sel:DWORD
	v_cndmask_b32_e32 v20, v28, v20, vcc_lo
	v_cndmask_b32_e32 v23, v27, v23, vcc_lo
	v_lshrrev_b32_e32 v27, 24, v22
	v_cndmask_b32_e32 v24, v29, v24, vcc_lo
	v_cndmask_b32_e32 v25, v30, v25, vcc_lo
	v_lshrrev_b32_e32 v29, 8, v22
	v_cmp_ne_u32_e32 vcc_lo, 1, v26
	v_lshrrev_b32_e32 v42, 8, v20
	v_lshrrev_b32_e32 v46, 16, v21
	;; [unrolled: 1-line block ×4, first 2 shown]
	v_cndmask_b32_e32 v28, 5, v29, vcc_lo
	v_cmp_ne_u32_e32 vcc_lo, 3, v26
	v_lshrrev_b32_e32 v29, 16, v22
	v_and_b32_e32 v41, 32, v19
	v_lshlrev_b16 v28, 8, v28
	v_cndmask_b32_e32 v27, 5, v27, vcc_lo
	v_cmp_ne_u32_e32 vcc_lo, 0, v26
	v_lshlrev_b16 v27, 8, v27
	v_cndmask_b32_e32 v30, 5, v22, vcc_lo
	v_cmp_ne_u32_e32 vcc_lo, 2, v26
	v_or_b32_sdwa v28, v30, v28 dst_sel:DWORD dst_unused:UNUSED_PAD src0_sel:BYTE_0 src1_sel:DWORD
	v_cndmask_b32_e32 v29, 5, v29, vcc_lo
	v_cmp_ne_u32_e32 vcc_lo, 21, v26
	v_lshrrev_b32_e32 v30, 24, v20
	v_or_b32_sdwa v27, v29, v27 dst_sel:WORD_1 dst_unused:UNUSED_PAD src0_sel:BYTE_0 src1_sel:DWORD
	v_cndmask_b32_e32 v29, 5, v42, vcc_lo
	v_cmp_ne_u32_e32 vcc_lo, 23, v26
	v_lshrrev_b32_e32 v42, 16, v20
	v_or_b32_sdwa v27, v28, v27 dst_sel:DWORD dst_unused:UNUSED_PAD src0_sel:WORD_0 src1_sel:DWORD
	v_lshlrev_b16 v29, 8, v29
	v_cndmask_b32_e32 v30, 5, v30, vcc_lo
	v_cmp_ne_u32_e32 vcc_lo, 20, v26
	v_lshrrev_b32_e32 v28, 8, v23
	v_lshlrev_b16 v30, 8, v30
	v_cndmask_b32_e32 v43, 5, v20, vcc_lo
	v_cmp_ne_u32_e32 vcc_lo, 22, v26
	v_or_b32_sdwa v29, v43, v29 dst_sel:DWORD dst_unused:UNUSED_PAD src0_sel:BYTE_0 src1_sel:DWORD
	v_cndmask_b32_e32 v42, 5, v42, vcc_lo
	v_cmp_ne_u32_e32 vcc_lo, 17, v26
	v_lshrrev_b32_e32 v43, 24, v23
	v_or_b32_sdwa v30, v42, v30 dst_sel:WORD_1 dst_unused:UNUSED_PAD src0_sel:BYTE_0 src1_sel:DWORD
	v_cndmask_b32_e32 v28, 5, v28, vcc_lo
	v_cmp_ne_u32_e32 vcc_lo, 19, v26
	v_or_b32_sdwa v29, v29, v30 dst_sel:DWORD dst_unused:UNUSED_PAD src0_sel:WORD_0 src1_sel:DWORD
	v_lshlrev_b16 v28, 8, v28
	v_cndmask_b32_e32 v42, 5, v43, vcc_lo
	v_cmp_ne_u32_e32 vcc_lo, 16, v26
	v_lshrrev_b32_e32 v43, 16, v23
	v_lshrrev_b32_e32 v30, 8, v21
	v_lshlrev_b16 v42, 8, v42
	v_cndmask_b32_e32 v44, 5, v23, vcc_lo
	v_cmp_ne_u32_e32 vcc_lo, 18, v26
	v_or_b32_sdwa v28, v44, v28 dst_sel:DWORD dst_unused:UNUSED_PAD src0_sel:BYTE_0 src1_sel:DWORD
	v_cndmask_b32_e32 v43, 5, v43, vcc_lo
	v_cmp_ne_u32_e32 vcc_lo, 13, v26
	v_lshrrev_b32_e32 v44, 24, v21
	v_or_b32_sdwa v42, v43, v42 dst_sel:WORD_1 dst_unused:UNUSED_PAD src0_sel:BYTE_0 src1_sel:DWORD
	v_cndmask_b32_e32 v30, 5, v30, vcc_lo
	v_cmp_ne_u32_e32 vcc_lo, 15, v26
	v_or_b32_sdwa v28, v28, v42 dst_sel:DWORD dst_unused:UNUSED_PAD src0_sel:WORD_0 src1_sel:DWORD
	v_lshlrev_b16 v30, 8, v30
	v_cndmask_b32_e32 v43, 5, v44, vcc_lo
	v_cmp_ne_u32_e32 vcc_lo, 12, v26
	v_lshrrev_b32_e32 v42, 24, v25
	v_lshlrev_b16 v43, 8, v43
	v_cndmask_b32_e32 v44, 5, v21, vcc_lo
	v_cmp_ne_u32_e32 vcc_lo, 9, v26
	v_or_b32_sdwa v30, v44, v30 dst_sel:DWORD dst_unused:UNUSED_PAD src0_sel:BYTE_0 src1_sel:DWORD
	v_cndmask_b32_e32 v45, 5, v45, vcc_lo
	v_cmp_ne_u32_e32 vcc_lo, 14, v26
	v_lshlrev_b16 v45, 8, v45
	v_cndmask_b32_e32 v46, 5, v46, vcc_lo
	v_cmp_ne_u32_e32 vcc_lo, 8, v26
	v_or_b32_sdwa v43, v46, v43 dst_sel:WORD_1 dst_unused:UNUSED_PAD src0_sel:BYTE_0 src1_sel:DWORD
	v_cndmask_b32_e32 v47, 5, v25, vcc_lo
	v_cmp_ne_u32_e32 vcc_lo, 11, v26
	v_lshrrev_b32_e32 v46, 24, v24
	v_or_b32_sdwa v30, v30, v43 dst_sel:DWORD dst_unused:UNUSED_PAD src0_sel:WORD_0 src1_sel:DWORD
	v_or_b32_sdwa v44, v47, v45 dst_sel:DWORD dst_unused:UNUSED_PAD src0_sel:BYTE_0 src1_sel:DWORD
	v_lshrrev_b32_e32 v45, 8, v24
	v_cndmask_b32_e32 v42, 5, v42, vcc_lo
	v_cmp_ne_u32_e32 vcc_lo, 5, v26
	v_lshrrev_b32_e32 v47, 16, v25
	v_lshlrev_b16 v42, 8, v42
	v_cndmask_b32_e32 v45, 5, v45, vcc_lo
	v_cmp_ne_u32_e32 vcc_lo, 7, v26
	v_lshlrev_b16 v45, 8, v45
	v_cndmask_b32_e32 v46, 5, v46, vcc_lo
	v_cmp_ne_u32_e32 vcc_lo, 4, v26
	;; [unrolled: 3-line block ×3, first 2 shown]
	v_or_b32_sdwa v45, v49, v45 dst_sel:DWORD dst_unused:UNUSED_PAD src0_sel:BYTE_0 src1_sel:DWORD
	v_cndmask_b32_e32 v48, 5, v48, vcc_lo
	v_cmp_ne_u32_e32 vcc_lo, 10, v26
	v_or_b32_sdwa v46, v48, v46 dst_sel:WORD_1 dst_unused:UNUSED_PAD src0_sel:BYTE_0 src1_sel:DWORD
	v_cndmask_b32_e32 v47, 5, v47, vcc_lo
	v_bfe_u32 v48, v19, 5, 1
	v_cmp_eq_u32_e32 vcc_lo, 0, v41
	v_or_b32_sdwa v41, v45, v46 dst_sel:DWORD dst_unused:UNUSED_PAD src0_sel:WORD_0 src1_sel:DWORD
	v_add_nc_u32_e32 v26, v26, v48
	v_cndmask_b32_e32 v22, v27, v22, vcc_lo
	v_or_b32_sdwa v27, v47, v42 dst_sel:WORD_1 dst_unused:UNUSED_PAD src0_sel:BYTE_0 src1_sel:DWORD
	v_cndmask_b32_e32 v24, v41, v24, vcc_lo
	v_cndmask_b32_e32 v20, v29, v20, vcc_lo
	v_cmp_ne_u32_e64 s6, 1, v26
	v_lshrrev_b32_e32 v42, 8, v22
	v_lshrrev_b32_e32 v43, 24, v22
	v_or_b32_sdwa v27, v44, v27 dst_sel:DWORD dst_unused:UNUSED_PAD src0_sel:WORD_0 src1_sel:DWORD
	v_cndmask_b32_e32 v21, v30, v21, vcc_lo
	v_cndmask_b32_e32 v23, v28, v23, vcc_lo
	v_cndmask_b32_e64 v41, 6, v42, s6
	v_cmp_ne_u32_e64 s6, 3, v26
	v_cndmask_b32_e32 v25, v27, v25, vcc_lo
	v_lshrrev_b32_e32 v28, 8, v20
	v_cmp_ne_u32_e32 vcc_lo, 21, v26
	v_lshlrev_b16 v41, 8, v41
	v_cndmask_b32_e64 v42, 6, v43, s6
	v_cmp_ne_u32_e64 s6, 0, v26
	v_lshrrev_b32_e32 v43, 16, v22
	v_cndmask_b32_e32 v28, 6, v28, vcc_lo
	v_cmp_ne_u32_e32 vcc_lo, 23, v26
	v_lshlrev_b16 v42, 8, v42
	v_cndmask_b32_e64 v44, 6, v22, s6
	v_cmp_ne_u32_e64 s6, 2, v26
	v_and_b32_e32 v30, 64, v19
	v_lshlrev_b16 v28, 8, v28
	v_lshrrev_b32_e32 v45, 24, v21
	v_or_b32_sdwa v27, v44, v41 dst_sel:DWORD dst_unused:UNUSED_PAD src0_sel:BYTE_0 src1_sel:DWORD
	v_cndmask_b32_e64 v43, 6, v43, s6
	v_lshrrev_b32_e32 v41, 24, v20
	v_cmp_ne_u32_e64 s6, 17, v26
	v_lshrrev_b32_e32 v44, 16, v23
	v_lshrrev_b32_e32 v48, 16, v25
	v_or_b32_sdwa v29, v43, v42 dst_sel:WORD_1 dst_unused:UNUSED_PAD src0_sel:BYTE_0 src1_sel:DWORD
	v_lshrrev_b32_e32 v43, 8, v21
	v_lshrrev_b32_e32 v49, 8, v24
	;; [unrolled: 1-line block ×4, first 2 shown]
	v_or_b32_sdwa v27, v27, v29 dst_sel:DWORD dst_unused:UNUSED_PAD src0_sel:WORD_0 src1_sel:DWORD
	v_cndmask_b32_e32 v29, 6, v41, vcc_lo
	v_cmp_ne_u32_e32 vcc_lo, 20, v26
	v_lshrrev_b32_e32 v41, 16, v20
	v_lshlrev_b16 v29, 8, v29
	v_cndmask_b32_e32 v42, 6, v20, vcc_lo
	v_cmp_ne_u32_e32 vcc_lo, 22, v26
	v_or_b32_sdwa v28, v42, v28 dst_sel:DWORD dst_unused:UNUSED_PAD src0_sel:BYTE_0 src1_sel:DWORD
	v_cndmask_b32_e32 v41, 6, v41, vcc_lo
	v_cmp_eq_u32_e32 vcc_lo, 0, v30
	v_lshrrev_b32_e32 v30, 8, v23
	v_lshrrev_b32_e32 v42, 24, v23
	v_or_b32_sdwa v29, v41, v29 dst_sel:WORD_1 dst_unused:UNUSED_PAD src0_sel:BYTE_0 src1_sel:DWORD
	v_cndmask_b32_e32 v22, v27, v22, vcc_lo
	v_cndmask_b32_e64 v30, 6, v30, s6
	v_cmp_ne_u32_e64 s6, 19, v26
	v_or_b32_sdwa v28, v28, v29 dst_sel:DWORD dst_unused:UNUSED_PAD src0_sel:WORD_0 src1_sel:DWORD
	v_lshrrev_b32_e32 v27, 8, v22
	v_lshlrev_b16 v30, 8, v30
	v_cndmask_b32_e64 v41, 6, v42, s6
	v_cmp_ne_u32_e64 s6, 16, v26
	v_cndmask_b32_e32 v20, v28, v20, vcc_lo
	v_lshlrev_b16 v41, 8, v41
	v_cndmask_b32_e64 v42, 6, v23, s6
	v_cmp_ne_u32_e64 s6, 13, v26
	v_or_b32_sdwa v30, v42, v30 dst_sel:DWORD dst_unused:UNUSED_PAD src0_sel:BYTE_0 src1_sel:DWORD
	v_cndmask_b32_e64 v43, 6, v43, s6
	v_cmp_ne_u32_e64 s6, 18, v26
	v_lshlrev_b16 v43, 8, v43
	v_cndmask_b32_e64 v44, 6, v44, s6
	v_cmp_ne_u32_e64 s6, 12, v26
	v_or_b32_sdwa v41, v44, v41 dst_sel:WORD_1 dst_unused:UNUSED_PAD src0_sel:BYTE_0 src1_sel:DWORD
	v_cndmask_b32_e64 v46, 6, v21, s6
	v_cmp_ne_u32_e64 s6, 15, v26
	v_or_b32_sdwa v29, v30, v41 dst_sel:DWORD dst_unused:UNUSED_PAD src0_sel:WORD_0 src1_sel:DWORD
	v_or_b32_sdwa v42, v46, v43 dst_sel:DWORD dst_unused:UNUSED_PAD src0_sel:BYTE_0 src1_sel:DWORD
	v_cndmask_b32_e64 v45, 6, v45, s6
	v_lshrrev_b32_e32 v43, 8, v25
	v_cmp_ne_u32_e64 s6, 9, v26
	v_lshrrev_b32_e32 v46, 16, v21
	v_cndmask_b32_e32 v23, v29, v23, vcc_lo
	v_lshlrev_b16 v44, 8, v45
	v_lshrrev_b32_e32 v45, 24, v25
	v_cndmask_b32_e64 v43, 6, v43, s6
	v_cmp_ne_u32_e64 s6, 11, v26
	v_lshrrev_b32_e32 v29, 24, v22
	v_lshlrev_b16 v43, 8, v43
	v_cndmask_b32_e64 v45, 6, v45, s6
	v_cmp_ne_u32_e64 s6, 8, v26
	v_lshlrev_b16 v45, 8, v45
	v_cndmask_b32_e64 v47, 6, v25, s6
	v_cmp_ne_u32_e64 s6, 10, v26
	v_or_b32_sdwa v43, v47, v43 dst_sel:DWORD dst_unused:UNUSED_PAD src0_sel:BYTE_0 src1_sel:DWORD
	v_cndmask_b32_e64 v48, 6, v48, s6
	v_cmp_ne_u32_e64 s6, 5, v26
	v_or_b32_sdwa v45, v48, v45 dst_sel:WORD_1 dst_unused:UNUSED_PAD src0_sel:BYTE_0 src1_sel:DWORD
	v_cndmask_b32_e64 v49, 6, v49, s6
	v_cmp_ne_u32_e64 s6, 7, v26
	v_or_b32_sdwa v41, v43, v45 dst_sel:DWORD dst_unused:UNUSED_PAD src0_sel:WORD_0 src1_sel:DWORD
	v_lshlrev_b16 v49, 8, v49
	v_cndmask_b32_e64 v50, 6, v50, s6
	v_cmp_ne_u32_e64 s6, 4, v26
	v_bfe_u32 v43, v19, 6, 1
	v_cndmask_b32_e32 v25, v41, v25, vcc_lo
	v_and_b32_e32 v41, 0x80, v19
	v_lshlrev_b16 v50, 8, v50
	v_cndmask_b32_e64 v52, 6, v24, s6
	v_cmp_ne_u32_e64 s6, 6, v26
	v_lshrrev_b32_e32 v45, 8, v25
	v_or_b32_sdwa v47, v52, v49 dst_sel:DWORD dst_unused:UNUSED_PAD src0_sel:BYTE_0 src1_sel:DWORD
	v_cndmask_b32_e64 v51, 6, v51, s6
	v_cmp_ne_u32_e64 s6, 14, v26
	v_add_nc_u32_e32 v26, v26, v43
	v_or_b32_sdwa v49, v51, v50 dst_sel:WORD_1 dst_unused:UNUSED_PAD src0_sel:BYTE_0 src1_sel:DWORD
	v_cndmask_b32_e64 v46, 6, v46, s6
	v_or_b32_sdwa v30, v47, v49 dst_sel:DWORD dst_unused:UNUSED_PAD src0_sel:WORD_0 src1_sel:DWORD
	v_or_b32_sdwa v44, v46, v44 dst_sel:WORD_1 dst_unused:UNUSED_PAD src0_sel:BYTE_0 src1_sel:DWORD
	v_cndmask_b32_e32 v24, v30, v24, vcc_lo
	v_or_b32_sdwa v42, v42, v44 dst_sel:DWORD dst_unused:UNUSED_PAD src0_sel:WORD_0 src1_sel:DWORD
	v_lshrrev_b32_e32 v48, 16, v24
	v_cndmask_b32_e32 v21, v42, v21, vcc_lo
	v_cmp_ne_u32_e32 vcc_lo, 1, v26
	v_lshrrev_b32_e32 v42, 8, v20
	v_lshrrev_b32_e32 v46, 16, v21
	v_cndmask_b32_e32 v27, 7, v27, vcc_lo
	v_cmp_ne_u32_e32 vcc_lo, 3, v26
	v_lshlrev_b16 v27, 8, v27
	v_cndmask_b32_e32 v28, 7, v29, vcc_lo
	v_cmp_ne_u32_e32 vcc_lo, 0, v26
	v_lshrrev_b32_e32 v29, 16, v22
	v_lshlrev_b16 v28, 8, v28
	v_cndmask_b32_e32 v30, 7, v22, vcc_lo
	v_cmp_ne_u32_e32 vcc_lo, 2, v26
	v_or_b32_sdwa v27, v30, v27 dst_sel:DWORD dst_unused:UNUSED_PAD src0_sel:BYTE_0 src1_sel:DWORD
	v_cndmask_b32_e32 v29, 7, v29, vcc_lo
	v_cmp_ne_u32_e32 vcc_lo, 21, v26
	v_lshrrev_b32_e32 v30, 24, v20
	v_or_b32_sdwa v28, v29, v28 dst_sel:WORD_1 dst_unused:UNUSED_PAD src0_sel:BYTE_0 src1_sel:DWORD
	v_cndmask_b32_e32 v29, 7, v42, vcc_lo
	v_cmp_ne_u32_e32 vcc_lo, 23, v26
	v_lshrrev_b32_e32 v42, 16, v20
	v_or_b32_sdwa v27, v27, v28 dst_sel:DWORD dst_unused:UNUSED_PAD src0_sel:WORD_0 src1_sel:DWORD
	v_lshlrev_b16 v29, 8, v29
	v_cndmask_b32_e32 v30, 7, v30, vcc_lo
	v_cmp_ne_u32_e32 vcc_lo, 20, v26
	v_lshrrev_b32_e32 v28, 8, v23
	v_lshlrev_b16 v30, 8, v30
	v_cndmask_b32_e32 v43, 7, v20, vcc_lo
	v_cmp_ne_u32_e32 vcc_lo, 22, v26
	v_or_b32_sdwa v29, v43, v29 dst_sel:DWORD dst_unused:UNUSED_PAD src0_sel:BYTE_0 src1_sel:DWORD
	v_cndmask_b32_e32 v42, 7, v42, vcc_lo
	v_cmp_ne_u32_e32 vcc_lo, 17, v26
	v_lshrrev_b32_e32 v43, 24, v23
	v_or_b32_sdwa v30, v42, v30 dst_sel:WORD_1 dst_unused:UNUSED_PAD src0_sel:BYTE_0 src1_sel:DWORD
	v_cndmask_b32_e32 v28, 7, v28, vcc_lo
	v_cmp_ne_u32_e32 vcc_lo, 19, v26
	v_or_b32_sdwa v29, v29, v30 dst_sel:DWORD dst_unused:UNUSED_PAD src0_sel:WORD_0 src1_sel:DWORD
	v_lshlrev_b16 v28, 8, v28
	v_cndmask_b32_e32 v42, 7, v43, vcc_lo
	v_cmp_ne_u32_e32 vcc_lo, 16, v26
	v_lshrrev_b32_e32 v43, 16, v23
	v_lshrrev_b32_e32 v30, 8, v21
	v_lshlrev_b16 v42, 8, v42
	v_cndmask_b32_e32 v44, 7, v23, vcc_lo
	v_cmp_ne_u32_e32 vcc_lo, 18, v26
	v_or_b32_sdwa v28, v44, v28 dst_sel:DWORD dst_unused:UNUSED_PAD src0_sel:BYTE_0 src1_sel:DWORD
	v_cndmask_b32_e32 v43, 7, v43, vcc_lo
	v_cmp_ne_u32_e32 vcc_lo, 13, v26
	v_lshrrev_b32_e32 v44, 24, v21
	v_or_b32_sdwa v42, v43, v42 dst_sel:WORD_1 dst_unused:UNUSED_PAD src0_sel:BYTE_0 src1_sel:DWORD
	v_cndmask_b32_e32 v30, 7, v30, vcc_lo
	v_cmp_ne_u32_e32 vcc_lo, 15, v26
	v_or_b32_sdwa v28, v28, v42 dst_sel:DWORD dst_unused:UNUSED_PAD src0_sel:WORD_0 src1_sel:DWORD
	v_lshlrev_b16 v30, 8, v30
	v_cndmask_b32_e32 v43, 7, v44, vcc_lo
	v_cmp_ne_u32_e32 vcc_lo, 12, v26
	v_lshrrev_b32_e32 v42, 24, v25
	v_lshlrev_b16 v43, 8, v43
	v_cndmask_b32_e32 v44, 7, v21, vcc_lo
	v_cmp_ne_u32_e32 vcc_lo, 9, v26
	v_or_b32_sdwa v30, v44, v30 dst_sel:DWORD dst_unused:UNUSED_PAD src0_sel:BYTE_0 src1_sel:DWORD
	v_cndmask_b32_e32 v45, 7, v45, vcc_lo
	v_cmp_ne_u32_e32 vcc_lo, 14, v26
	v_lshlrev_b16 v45, 8, v45
	v_cndmask_b32_e32 v46, 7, v46, vcc_lo
	v_cmp_ne_u32_e32 vcc_lo, 8, v26
	v_or_b32_sdwa v43, v46, v43 dst_sel:WORD_1 dst_unused:UNUSED_PAD src0_sel:BYTE_0 src1_sel:DWORD
	v_cndmask_b32_e32 v47, 7, v25, vcc_lo
	v_cmp_ne_u32_e32 vcc_lo, 11, v26
	v_lshrrev_b32_e32 v46, 24, v24
	v_or_b32_sdwa v30, v30, v43 dst_sel:DWORD dst_unused:UNUSED_PAD src0_sel:WORD_0 src1_sel:DWORD
	v_or_b32_sdwa v44, v47, v45 dst_sel:DWORD dst_unused:UNUSED_PAD src0_sel:BYTE_0 src1_sel:DWORD
	v_lshrrev_b32_e32 v45, 8, v24
	v_cndmask_b32_e32 v42, 7, v42, vcc_lo
	v_cmp_ne_u32_e32 vcc_lo, 5, v26
	v_lshrrev_b32_e32 v47, 16, v25
	v_lshlrev_b16 v42, 8, v42
	v_cndmask_b32_e32 v45, 7, v45, vcc_lo
	v_cmp_ne_u32_e32 vcc_lo, 7, v26
	v_lshlrev_b16 v45, 8, v45
	v_cndmask_b32_e32 v46, 7, v46, vcc_lo
	v_cmp_ne_u32_e32 vcc_lo, 4, v26
	;; [unrolled: 3-line block ×3, first 2 shown]
	v_or_b32_sdwa v45, v49, v45 dst_sel:DWORD dst_unused:UNUSED_PAD src0_sel:BYTE_0 src1_sel:DWORD
	v_cndmask_b32_e32 v48, 7, v48, vcc_lo
	v_cmp_ne_u32_e32 vcc_lo, 10, v26
	v_or_b32_sdwa v46, v48, v46 dst_sel:WORD_1 dst_unused:UNUSED_PAD src0_sel:BYTE_0 src1_sel:DWORD
	v_cndmask_b32_e32 v47, 7, v47, vcc_lo
	v_bfe_u32 v48, v19, 7, 1
	v_cmp_eq_u32_e32 vcc_lo, 0, v41
	v_or_b32_sdwa v41, v45, v46 dst_sel:DWORD dst_unused:UNUSED_PAD src0_sel:WORD_0 src1_sel:DWORD
	v_add_nc_u32_e32 v26, v26, v48
	v_cndmask_b32_e32 v22, v27, v22, vcc_lo
	v_or_b32_sdwa v27, v47, v42 dst_sel:WORD_1 dst_unused:UNUSED_PAD src0_sel:BYTE_0 src1_sel:DWORD
	v_cndmask_b32_e32 v24, v41, v24, vcc_lo
	v_cndmask_b32_e32 v20, v29, v20, vcc_lo
	v_cmp_ne_u32_e64 s6, 1, v26
	v_lshrrev_b32_e32 v42, 8, v22
	v_lshrrev_b32_e32 v43, 24, v22
	v_or_b32_sdwa v27, v44, v27 dst_sel:DWORD dst_unused:UNUSED_PAD src0_sel:WORD_0 src1_sel:DWORD
	v_cndmask_b32_e32 v21, v30, v21, vcc_lo
	v_cndmask_b32_e32 v23, v28, v23, vcc_lo
	v_cndmask_b32_e64 v41, 8, v42, s6
	v_cmp_ne_u32_e64 s6, 3, v26
	v_cndmask_b32_e32 v25, v27, v25, vcc_lo
	v_lshrrev_b32_e32 v28, 8, v20
	v_cmp_ne_u32_e32 vcc_lo, 21, v26
	v_lshlrev_b16 v41, 8, v41
	v_cndmask_b32_e64 v42, 8, v43, s6
	v_cmp_ne_u32_e64 s6, 0, v26
	v_lshrrev_b32_e32 v43, 16, v22
	v_cndmask_b32_e32 v28, 8, v28, vcc_lo
	v_cmp_ne_u32_e32 vcc_lo, 23, v26
	v_lshlrev_b16 v42, 8, v42
	v_cndmask_b32_e64 v44, 8, v22, s6
	v_cmp_ne_u32_e64 s6, 2, v26
	v_and_b32_e32 v30, 0x100, v19
	v_lshlrev_b16 v28, 8, v28
	v_lshrrev_b32_e32 v45, 24, v21
	v_or_b32_sdwa v27, v44, v41 dst_sel:DWORD dst_unused:UNUSED_PAD src0_sel:BYTE_0 src1_sel:DWORD
	v_cndmask_b32_e64 v43, 8, v43, s6
	v_lshrrev_b32_e32 v41, 24, v20
	v_cmp_ne_u32_e64 s6, 17, v26
	v_lshrrev_b32_e32 v44, 16, v23
	v_lshrrev_b32_e32 v48, 16, v25
	v_or_b32_sdwa v29, v43, v42 dst_sel:WORD_1 dst_unused:UNUSED_PAD src0_sel:BYTE_0 src1_sel:DWORD
	v_lshrrev_b32_e32 v43, 8, v21
	v_lshrrev_b32_e32 v49, 8, v24
	;; [unrolled: 1-line block ×4, first 2 shown]
	v_or_b32_sdwa v27, v27, v29 dst_sel:DWORD dst_unused:UNUSED_PAD src0_sel:WORD_0 src1_sel:DWORD
	v_cndmask_b32_e32 v29, 8, v41, vcc_lo
	v_cmp_ne_u32_e32 vcc_lo, 20, v26
	v_lshrrev_b32_e32 v41, 16, v20
	v_lshlrev_b16 v29, 8, v29
	v_cndmask_b32_e32 v42, 8, v20, vcc_lo
	v_cmp_ne_u32_e32 vcc_lo, 22, v26
	v_or_b32_sdwa v28, v42, v28 dst_sel:DWORD dst_unused:UNUSED_PAD src0_sel:BYTE_0 src1_sel:DWORD
	v_cndmask_b32_e32 v41, 8, v41, vcc_lo
	v_cmp_eq_u32_e32 vcc_lo, 0, v30
	v_lshrrev_b32_e32 v30, 8, v23
	v_lshrrev_b32_e32 v42, 24, v23
	v_or_b32_sdwa v29, v41, v29 dst_sel:WORD_1 dst_unused:UNUSED_PAD src0_sel:BYTE_0 src1_sel:DWORD
	v_cndmask_b32_e32 v22, v27, v22, vcc_lo
	v_cndmask_b32_e64 v30, 8, v30, s6
	v_cmp_ne_u32_e64 s6, 19, v26
	v_or_b32_sdwa v28, v28, v29 dst_sel:DWORD dst_unused:UNUSED_PAD src0_sel:WORD_0 src1_sel:DWORD
	v_lshrrev_b32_e32 v27, 8, v22
	v_lshlrev_b16 v30, 8, v30
	v_cndmask_b32_e64 v41, 8, v42, s6
	v_cmp_ne_u32_e64 s6, 16, v26
	v_cndmask_b32_e32 v20, v28, v20, vcc_lo
	v_lshlrev_b16 v41, 8, v41
	v_cndmask_b32_e64 v42, 8, v23, s6
	v_cmp_ne_u32_e64 s6, 13, v26
	v_or_b32_sdwa v30, v42, v30 dst_sel:DWORD dst_unused:UNUSED_PAD src0_sel:BYTE_0 src1_sel:DWORD
	v_cndmask_b32_e64 v43, 8, v43, s6
	v_cmp_ne_u32_e64 s6, 18, v26
	v_lshlrev_b16 v43, 8, v43
	v_cndmask_b32_e64 v44, 8, v44, s6
	v_cmp_ne_u32_e64 s6, 12, v26
	v_or_b32_sdwa v41, v44, v41 dst_sel:WORD_1 dst_unused:UNUSED_PAD src0_sel:BYTE_0 src1_sel:DWORD
	v_cndmask_b32_e64 v46, 8, v21, s6
	v_cmp_ne_u32_e64 s6, 15, v26
	v_or_b32_sdwa v29, v30, v41 dst_sel:DWORD dst_unused:UNUSED_PAD src0_sel:WORD_0 src1_sel:DWORD
	v_or_b32_sdwa v42, v46, v43 dst_sel:DWORD dst_unused:UNUSED_PAD src0_sel:BYTE_0 src1_sel:DWORD
	v_cndmask_b32_e64 v45, 8, v45, s6
	v_lshrrev_b32_e32 v43, 8, v25
	v_cmp_ne_u32_e64 s6, 9, v26
	v_lshrrev_b32_e32 v46, 16, v21
	v_cndmask_b32_e32 v23, v29, v23, vcc_lo
	v_lshlrev_b16 v44, 8, v45
	v_lshrrev_b32_e32 v45, 24, v25
	v_cndmask_b32_e64 v43, 8, v43, s6
	v_cmp_ne_u32_e64 s6, 11, v26
	v_lshrrev_b32_e32 v29, 24, v22
	v_lshlrev_b16 v43, 8, v43
	v_cndmask_b32_e64 v45, 8, v45, s6
	v_cmp_ne_u32_e64 s6, 8, v26
	v_lshlrev_b16 v45, 8, v45
	v_cndmask_b32_e64 v47, 8, v25, s6
	v_cmp_ne_u32_e64 s6, 10, v26
	v_or_b32_sdwa v43, v47, v43 dst_sel:DWORD dst_unused:UNUSED_PAD src0_sel:BYTE_0 src1_sel:DWORD
	v_cndmask_b32_e64 v48, 8, v48, s6
	v_cmp_ne_u32_e64 s6, 5, v26
	v_or_b32_sdwa v45, v48, v45 dst_sel:WORD_1 dst_unused:UNUSED_PAD src0_sel:BYTE_0 src1_sel:DWORD
	v_cndmask_b32_e64 v49, 8, v49, s6
	v_cmp_ne_u32_e64 s6, 7, v26
	v_or_b32_sdwa v41, v43, v45 dst_sel:DWORD dst_unused:UNUSED_PAD src0_sel:WORD_0 src1_sel:DWORD
	v_lshlrev_b16 v49, 8, v49
	v_cndmask_b32_e64 v50, 8, v50, s6
	v_cmp_ne_u32_e64 s6, 4, v26
	v_bfe_u32 v43, v19, 8, 1
	v_cndmask_b32_e32 v25, v41, v25, vcc_lo
	v_and_b32_e32 v41, 0x200, v19
	v_lshlrev_b16 v50, 8, v50
	v_cndmask_b32_e64 v52, 8, v24, s6
	v_cmp_ne_u32_e64 s6, 6, v26
	v_lshrrev_b32_e32 v45, 8, v25
	v_or_b32_sdwa v47, v52, v49 dst_sel:DWORD dst_unused:UNUSED_PAD src0_sel:BYTE_0 src1_sel:DWORD
	v_cndmask_b32_e64 v51, 8, v51, s6
	v_cmp_ne_u32_e64 s6, 14, v26
	v_add_nc_u32_e32 v26, v26, v43
	v_or_b32_sdwa v49, v51, v50 dst_sel:WORD_1 dst_unused:UNUSED_PAD src0_sel:BYTE_0 src1_sel:DWORD
	v_cndmask_b32_e64 v46, 8, v46, s6
	v_or_b32_sdwa v30, v47, v49 dst_sel:DWORD dst_unused:UNUSED_PAD src0_sel:WORD_0 src1_sel:DWORD
	v_or_b32_sdwa v44, v46, v44 dst_sel:WORD_1 dst_unused:UNUSED_PAD src0_sel:BYTE_0 src1_sel:DWORD
	v_cndmask_b32_e32 v24, v30, v24, vcc_lo
	v_or_b32_sdwa v42, v42, v44 dst_sel:DWORD dst_unused:UNUSED_PAD src0_sel:WORD_0 src1_sel:DWORD
	v_lshrrev_b32_e32 v48, 16, v24
	v_cndmask_b32_e32 v21, v42, v21, vcc_lo
	v_cmp_ne_u32_e32 vcc_lo, 1, v26
	v_lshrrev_b32_e32 v42, 8, v20
	v_lshrrev_b32_e32 v46, 16, v21
	v_cndmask_b32_e32 v27, 9, v27, vcc_lo
	v_cmp_ne_u32_e32 vcc_lo, 3, v26
	v_lshlrev_b16 v27, 8, v27
	v_cndmask_b32_e32 v28, 9, v29, vcc_lo
	v_cmp_ne_u32_e32 vcc_lo, 0, v26
	v_lshrrev_b32_e32 v29, 16, v22
	v_lshlrev_b16 v28, 8, v28
	v_cndmask_b32_e32 v30, 9, v22, vcc_lo
	v_cmp_ne_u32_e32 vcc_lo, 2, v26
	v_or_b32_sdwa v27, v30, v27 dst_sel:DWORD dst_unused:UNUSED_PAD src0_sel:BYTE_0 src1_sel:DWORD
	v_cndmask_b32_e32 v29, 9, v29, vcc_lo
	v_cmp_ne_u32_e32 vcc_lo, 21, v26
	v_lshrrev_b32_e32 v30, 24, v20
	v_or_b32_sdwa v28, v29, v28 dst_sel:WORD_1 dst_unused:UNUSED_PAD src0_sel:BYTE_0 src1_sel:DWORD
	v_cndmask_b32_e32 v29, 9, v42, vcc_lo
	v_cmp_ne_u32_e32 vcc_lo, 23, v26
	v_lshrrev_b32_e32 v42, 16, v20
	v_or_b32_sdwa v27, v27, v28 dst_sel:DWORD dst_unused:UNUSED_PAD src0_sel:WORD_0 src1_sel:DWORD
	v_lshlrev_b16 v29, 8, v29
	v_cndmask_b32_e32 v30, 9, v30, vcc_lo
	v_cmp_ne_u32_e32 vcc_lo, 20, v26
	v_lshrrev_b32_e32 v28, 8, v23
	v_lshlrev_b16 v30, 8, v30
	v_cndmask_b32_e32 v43, 9, v20, vcc_lo
	v_cmp_ne_u32_e32 vcc_lo, 22, v26
	v_or_b32_sdwa v29, v43, v29 dst_sel:DWORD dst_unused:UNUSED_PAD src0_sel:BYTE_0 src1_sel:DWORD
	v_cndmask_b32_e32 v42, 9, v42, vcc_lo
	v_cmp_ne_u32_e32 vcc_lo, 17, v26
	v_lshrrev_b32_e32 v43, 24, v23
	v_or_b32_sdwa v30, v42, v30 dst_sel:WORD_1 dst_unused:UNUSED_PAD src0_sel:BYTE_0 src1_sel:DWORD
	v_cndmask_b32_e32 v28, 9, v28, vcc_lo
	v_cmp_ne_u32_e32 vcc_lo, 19, v26
	v_or_b32_sdwa v29, v29, v30 dst_sel:DWORD dst_unused:UNUSED_PAD src0_sel:WORD_0 src1_sel:DWORD
	v_lshlrev_b16 v28, 8, v28
	v_cndmask_b32_e32 v42, 9, v43, vcc_lo
	v_cmp_ne_u32_e32 vcc_lo, 16, v26
	v_lshrrev_b32_e32 v43, 16, v23
	v_lshrrev_b32_e32 v30, 8, v21
	v_lshlrev_b16 v42, 8, v42
	v_cndmask_b32_e32 v44, 9, v23, vcc_lo
	v_cmp_ne_u32_e32 vcc_lo, 18, v26
	v_or_b32_sdwa v28, v44, v28 dst_sel:DWORD dst_unused:UNUSED_PAD src0_sel:BYTE_0 src1_sel:DWORD
	v_cndmask_b32_e32 v43, 9, v43, vcc_lo
	v_cmp_ne_u32_e32 vcc_lo, 13, v26
	v_lshrrev_b32_e32 v44, 24, v21
	v_or_b32_sdwa v42, v43, v42 dst_sel:WORD_1 dst_unused:UNUSED_PAD src0_sel:BYTE_0 src1_sel:DWORD
	v_cndmask_b32_e32 v30, 9, v30, vcc_lo
	v_cmp_ne_u32_e32 vcc_lo, 15, v26
	v_or_b32_sdwa v28, v28, v42 dst_sel:DWORD dst_unused:UNUSED_PAD src0_sel:WORD_0 src1_sel:DWORD
	v_lshlrev_b16 v30, 8, v30
	v_cndmask_b32_e32 v43, 9, v44, vcc_lo
	v_cmp_ne_u32_e32 vcc_lo, 12, v26
	v_lshrrev_b32_e32 v42, 24, v25
	v_lshlrev_b16 v43, 8, v43
	v_cndmask_b32_e32 v44, 9, v21, vcc_lo
	v_cmp_ne_u32_e32 vcc_lo, 9, v26
	v_or_b32_sdwa v30, v44, v30 dst_sel:DWORD dst_unused:UNUSED_PAD src0_sel:BYTE_0 src1_sel:DWORD
	v_cndmask_b32_e32 v45, 9, v45, vcc_lo
	v_cmp_ne_u32_e32 vcc_lo, 14, v26
	v_lshlrev_b16 v45, 8, v45
	v_cndmask_b32_e32 v46, 9, v46, vcc_lo
	v_cmp_ne_u32_e32 vcc_lo, 8, v26
	v_or_b32_sdwa v43, v46, v43 dst_sel:WORD_1 dst_unused:UNUSED_PAD src0_sel:BYTE_0 src1_sel:DWORD
	v_cndmask_b32_e32 v47, 9, v25, vcc_lo
	v_cmp_ne_u32_e32 vcc_lo, 11, v26
	v_lshrrev_b32_e32 v46, 24, v24
	v_or_b32_sdwa v30, v30, v43 dst_sel:DWORD dst_unused:UNUSED_PAD src0_sel:WORD_0 src1_sel:DWORD
	v_or_b32_sdwa v44, v47, v45 dst_sel:DWORD dst_unused:UNUSED_PAD src0_sel:BYTE_0 src1_sel:DWORD
	v_lshrrev_b32_e32 v45, 8, v24
	v_cndmask_b32_e32 v42, 9, v42, vcc_lo
	v_cmp_ne_u32_e32 vcc_lo, 5, v26
	v_lshrrev_b32_e32 v47, 16, v25
	v_lshlrev_b16 v42, 8, v42
	v_cndmask_b32_e32 v45, 9, v45, vcc_lo
	v_cmp_ne_u32_e32 vcc_lo, 7, v26
	v_lshlrev_b16 v45, 8, v45
	v_cndmask_b32_e32 v46, 9, v46, vcc_lo
	v_cmp_ne_u32_e32 vcc_lo, 4, v26
	;; [unrolled: 3-line block ×3, first 2 shown]
	v_or_b32_sdwa v45, v49, v45 dst_sel:DWORD dst_unused:UNUSED_PAD src0_sel:BYTE_0 src1_sel:DWORD
	v_cndmask_b32_e32 v48, 9, v48, vcc_lo
	v_cmp_ne_u32_e32 vcc_lo, 10, v26
	v_or_b32_sdwa v46, v48, v46 dst_sel:WORD_1 dst_unused:UNUSED_PAD src0_sel:BYTE_0 src1_sel:DWORD
	v_cndmask_b32_e32 v47, 9, v47, vcc_lo
	v_bfe_u32 v48, v19, 9, 1
	v_cmp_eq_u32_e32 vcc_lo, 0, v41
	v_or_b32_sdwa v41, v45, v46 dst_sel:DWORD dst_unused:UNUSED_PAD src0_sel:WORD_0 src1_sel:DWORD
	v_add_nc_u32_e32 v26, v26, v48
	v_cndmask_b32_e32 v22, v27, v22, vcc_lo
	v_or_b32_sdwa v27, v47, v42 dst_sel:WORD_1 dst_unused:UNUSED_PAD src0_sel:BYTE_0 src1_sel:DWORD
	v_cndmask_b32_e32 v24, v41, v24, vcc_lo
	v_cndmask_b32_e32 v20, v29, v20, vcc_lo
	v_cmp_ne_u32_e64 s6, 1, v26
	v_lshrrev_b32_e32 v42, 8, v22
	v_lshrrev_b32_e32 v43, 24, v22
	v_or_b32_sdwa v27, v44, v27 dst_sel:DWORD dst_unused:UNUSED_PAD src0_sel:WORD_0 src1_sel:DWORD
	v_cndmask_b32_e32 v21, v30, v21, vcc_lo
	v_cndmask_b32_e32 v23, v28, v23, vcc_lo
	v_cndmask_b32_e64 v41, 10, v42, s6
	v_cmp_ne_u32_e64 s6, 3, v26
	v_cndmask_b32_e32 v25, v27, v25, vcc_lo
	v_lshrrev_b32_e32 v28, 8, v20
	v_cmp_ne_u32_e32 vcc_lo, 21, v26
	v_lshlrev_b16 v41, 8, v41
	v_cndmask_b32_e64 v42, 10, v43, s6
	v_cmp_ne_u32_e64 s6, 0, v26
	v_lshrrev_b32_e32 v43, 16, v22
	v_cndmask_b32_e32 v28, 10, v28, vcc_lo
	v_cmp_ne_u32_e32 vcc_lo, 23, v26
	v_lshlrev_b16 v42, 8, v42
	v_cndmask_b32_e64 v44, 10, v22, s6
	v_cmp_ne_u32_e64 s6, 2, v26
	v_and_b32_e32 v30, 0x400, v19
	v_lshlrev_b16 v28, 8, v28
	v_lshrrev_b32_e32 v45, 24, v21
	v_or_b32_sdwa v27, v44, v41 dst_sel:DWORD dst_unused:UNUSED_PAD src0_sel:BYTE_0 src1_sel:DWORD
	v_cndmask_b32_e64 v43, 10, v43, s6
	v_lshrrev_b32_e32 v41, 24, v20
	v_cmp_ne_u32_e64 s6, 17, v26
	v_lshrrev_b32_e32 v44, 16, v23
	v_lshrrev_b32_e32 v48, 16, v25
	v_or_b32_sdwa v29, v43, v42 dst_sel:WORD_1 dst_unused:UNUSED_PAD src0_sel:BYTE_0 src1_sel:DWORD
	v_lshrrev_b32_e32 v43, 8, v21
	v_lshrrev_b32_e32 v49, 8, v24
	;; [unrolled: 1-line block ×4, first 2 shown]
	v_or_b32_sdwa v27, v27, v29 dst_sel:DWORD dst_unused:UNUSED_PAD src0_sel:WORD_0 src1_sel:DWORD
	v_cndmask_b32_e32 v29, 10, v41, vcc_lo
	v_cmp_ne_u32_e32 vcc_lo, 20, v26
	v_lshrrev_b32_e32 v41, 16, v20
	v_lshlrev_b16 v29, 8, v29
	v_cndmask_b32_e32 v42, 10, v20, vcc_lo
	v_cmp_ne_u32_e32 vcc_lo, 22, v26
	v_or_b32_sdwa v28, v42, v28 dst_sel:DWORD dst_unused:UNUSED_PAD src0_sel:BYTE_0 src1_sel:DWORD
	v_cndmask_b32_e32 v41, 10, v41, vcc_lo
	v_cmp_eq_u32_e32 vcc_lo, 0, v30
	v_lshrrev_b32_e32 v30, 8, v23
	v_lshrrev_b32_e32 v42, 24, v23
	v_or_b32_sdwa v29, v41, v29 dst_sel:WORD_1 dst_unused:UNUSED_PAD src0_sel:BYTE_0 src1_sel:DWORD
	v_cndmask_b32_e32 v22, v27, v22, vcc_lo
	v_cndmask_b32_e64 v30, 10, v30, s6
	v_cmp_ne_u32_e64 s6, 19, v26
	v_or_b32_sdwa v28, v28, v29 dst_sel:DWORD dst_unused:UNUSED_PAD src0_sel:WORD_0 src1_sel:DWORD
	v_lshrrev_b32_e32 v27, 8, v22
	v_lshlrev_b16 v30, 8, v30
	v_cndmask_b32_e64 v41, 10, v42, s6
	v_cmp_ne_u32_e64 s6, 16, v26
	v_cndmask_b32_e32 v20, v28, v20, vcc_lo
	v_lshlrev_b16 v41, 8, v41
	v_cndmask_b32_e64 v42, 10, v23, s6
	v_cmp_ne_u32_e64 s6, 13, v26
	v_or_b32_sdwa v30, v42, v30 dst_sel:DWORD dst_unused:UNUSED_PAD src0_sel:BYTE_0 src1_sel:DWORD
	v_cndmask_b32_e64 v43, 10, v43, s6
	v_cmp_ne_u32_e64 s6, 18, v26
	v_lshlrev_b16 v43, 8, v43
	v_cndmask_b32_e64 v44, 10, v44, s6
	v_cmp_ne_u32_e64 s6, 12, v26
	v_or_b32_sdwa v41, v44, v41 dst_sel:WORD_1 dst_unused:UNUSED_PAD src0_sel:BYTE_0 src1_sel:DWORD
	v_cndmask_b32_e64 v46, 10, v21, s6
	v_cmp_ne_u32_e64 s6, 15, v26
	v_or_b32_sdwa v29, v30, v41 dst_sel:DWORD dst_unused:UNUSED_PAD src0_sel:WORD_0 src1_sel:DWORD
	v_or_b32_sdwa v42, v46, v43 dst_sel:DWORD dst_unused:UNUSED_PAD src0_sel:BYTE_0 src1_sel:DWORD
	v_cndmask_b32_e64 v45, 10, v45, s6
	v_lshrrev_b32_e32 v43, 8, v25
	v_cmp_ne_u32_e64 s6, 9, v26
	v_lshrrev_b32_e32 v46, 16, v21
	v_cndmask_b32_e32 v23, v29, v23, vcc_lo
	v_lshlrev_b16 v44, 8, v45
	v_lshrrev_b32_e32 v45, 24, v25
	v_cndmask_b32_e64 v43, 10, v43, s6
	v_cmp_ne_u32_e64 s6, 11, v26
	v_lshrrev_b32_e32 v29, 24, v22
	v_lshlrev_b16 v43, 8, v43
	v_cndmask_b32_e64 v45, 10, v45, s6
	v_cmp_ne_u32_e64 s6, 8, v26
	v_lshlrev_b16 v45, 8, v45
	v_cndmask_b32_e64 v47, 10, v25, s6
	v_cmp_ne_u32_e64 s6, 10, v26
	v_or_b32_sdwa v43, v47, v43 dst_sel:DWORD dst_unused:UNUSED_PAD src0_sel:BYTE_0 src1_sel:DWORD
	v_cndmask_b32_e64 v48, 10, v48, s6
	v_cmp_ne_u32_e64 s6, 5, v26
	v_or_b32_sdwa v45, v48, v45 dst_sel:WORD_1 dst_unused:UNUSED_PAD src0_sel:BYTE_0 src1_sel:DWORD
	v_cndmask_b32_e64 v49, 10, v49, s6
	v_cmp_ne_u32_e64 s6, 7, v26
	v_or_b32_sdwa v41, v43, v45 dst_sel:DWORD dst_unused:UNUSED_PAD src0_sel:WORD_0 src1_sel:DWORD
	v_lshlrev_b16 v49, 8, v49
	v_cndmask_b32_e64 v50, 10, v50, s6
	v_cmp_ne_u32_e64 s6, 4, v26
	v_bfe_u32 v43, v19, 10, 1
	v_cndmask_b32_e32 v25, v41, v25, vcc_lo
	v_and_b32_e32 v41, 0x800, v19
	v_lshlrev_b16 v50, 8, v50
	v_cndmask_b32_e64 v52, 10, v24, s6
	v_cmp_ne_u32_e64 s6, 6, v26
	v_lshrrev_b32_e32 v45, 8, v25
	v_or_b32_sdwa v47, v52, v49 dst_sel:DWORD dst_unused:UNUSED_PAD src0_sel:BYTE_0 src1_sel:DWORD
	v_cndmask_b32_e64 v51, 10, v51, s6
	v_cmp_ne_u32_e64 s6, 14, v26
	v_add_nc_u32_e32 v26, v26, v43
	v_or_b32_sdwa v49, v51, v50 dst_sel:WORD_1 dst_unused:UNUSED_PAD src0_sel:BYTE_0 src1_sel:DWORD
	v_cndmask_b32_e64 v46, 10, v46, s6
	v_or_b32_sdwa v30, v47, v49 dst_sel:DWORD dst_unused:UNUSED_PAD src0_sel:WORD_0 src1_sel:DWORD
	v_or_b32_sdwa v44, v46, v44 dst_sel:WORD_1 dst_unused:UNUSED_PAD src0_sel:BYTE_0 src1_sel:DWORD
	v_cndmask_b32_e32 v24, v30, v24, vcc_lo
	v_or_b32_sdwa v42, v42, v44 dst_sel:DWORD dst_unused:UNUSED_PAD src0_sel:WORD_0 src1_sel:DWORD
	v_lshrrev_b32_e32 v48, 16, v24
	v_cndmask_b32_e32 v21, v42, v21, vcc_lo
	v_cmp_ne_u32_e32 vcc_lo, 1, v26
	v_lshrrev_b32_e32 v42, 8, v20
	v_lshrrev_b32_e32 v46, 16, v21
	v_cndmask_b32_e32 v27, 11, v27, vcc_lo
	v_cmp_ne_u32_e32 vcc_lo, 3, v26
	v_lshlrev_b16 v27, 8, v27
	v_cndmask_b32_e32 v28, 11, v29, vcc_lo
	v_cmp_ne_u32_e32 vcc_lo, 0, v26
	v_lshrrev_b32_e32 v29, 16, v22
	v_lshlrev_b16 v28, 8, v28
	v_cndmask_b32_e32 v30, 11, v22, vcc_lo
	v_cmp_ne_u32_e32 vcc_lo, 2, v26
	v_or_b32_sdwa v27, v30, v27 dst_sel:DWORD dst_unused:UNUSED_PAD src0_sel:BYTE_0 src1_sel:DWORD
	v_cndmask_b32_e32 v29, 11, v29, vcc_lo
	v_cmp_ne_u32_e32 vcc_lo, 21, v26
	v_lshrrev_b32_e32 v30, 24, v20
	v_or_b32_sdwa v28, v29, v28 dst_sel:WORD_1 dst_unused:UNUSED_PAD src0_sel:BYTE_0 src1_sel:DWORD
	v_cndmask_b32_e32 v29, 11, v42, vcc_lo
	v_cmp_ne_u32_e32 vcc_lo, 23, v26
	v_lshrrev_b32_e32 v42, 16, v20
	v_or_b32_sdwa v27, v27, v28 dst_sel:DWORD dst_unused:UNUSED_PAD src0_sel:WORD_0 src1_sel:DWORD
	v_lshlrev_b16 v29, 8, v29
	v_cndmask_b32_e32 v30, 11, v30, vcc_lo
	v_cmp_ne_u32_e32 vcc_lo, 20, v26
	v_lshrrev_b32_e32 v28, 8, v23
	v_lshlrev_b16 v30, 8, v30
	v_cndmask_b32_e32 v43, 11, v20, vcc_lo
	v_cmp_ne_u32_e32 vcc_lo, 22, v26
	v_or_b32_sdwa v29, v43, v29 dst_sel:DWORD dst_unused:UNUSED_PAD src0_sel:BYTE_0 src1_sel:DWORD
	v_cndmask_b32_e32 v42, 11, v42, vcc_lo
	v_cmp_ne_u32_e32 vcc_lo, 17, v26
	v_lshrrev_b32_e32 v43, 24, v23
	v_or_b32_sdwa v30, v42, v30 dst_sel:WORD_1 dst_unused:UNUSED_PAD src0_sel:BYTE_0 src1_sel:DWORD
	v_cndmask_b32_e32 v28, 11, v28, vcc_lo
	v_cmp_ne_u32_e32 vcc_lo, 19, v26
	v_or_b32_sdwa v29, v29, v30 dst_sel:DWORD dst_unused:UNUSED_PAD src0_sel:WORD_0 src1_sel:DWORD
	v_lshlrev_b16 v28, 8, v28
	v_cndmask_b32_e32 v42, 11, v43, vcc_lo
	v_cmp_ne_u32_e32 vcc_lo, 16, v26
	v_lshrrev_b32_e32 v43, 16, v23
	v_lshrrev_b32_e32 v30, 8, v21
	v_lshlrev_b16 v42, 8, v42
	v_cndmask_b32_e32 v44, 11, v23, vcc_lo
	v_cmp_ne_u32_e32 vcc_lo, 18, v26
	v_or_b32_sdwa v28, v44, v28 dst_sel:DWORD dst_unused:UNUSED_PAD src0_sel:BYTE_0 src1_sel:DWORD
	v_cndmask_b32_e32 v43, 11, v43, vcc_lo
	v_cmp_ne_u32_e32 vcc_lo, 13, v26
	v_lshrrev_b32_e32 v44, 24, v21
	v_or_b32_sdwa v42, v43, v42 dst_sel:WORD_1 dst_unused:UNUSED_PAD src0_sel:BYTE_0 src1_sel:DWORD
	v_cndmask_b32_e32 v30, 11, v30, vcc_lo
	v_cmp_ne_u32_e32 vcc_lo, 15, v26
	v_or_b32_sdwa v28, v28, v42 dst_sel:DWORD dst_unused:UNUSED_PAD src0_sel:WORD_0 src1_sel:DWORD
	v_lshlrev_b16 v30, 8, v30
	v_cndmask_b32_e32 v43, 11, v44, vcc_lo
	v_cmp_ne_u32_e32 vcc_lo, 12, v26
	v_lshrrev_b32_e32 v42, 24, v25
	v_lshlrev_b16 v43, 8, v43
	v_cndmask_b32_e32 v44, 11, v21, vcc_lo
	v_cmp_ne_u32_e32 vcc_lo, 9, v26
	v_or_b32_sdwa v30, v44, v30 dst_sel:DWORD dst_unused:UNUSED_PAD src0_sel:BYTE_0 src1_sel:DWORD
	v_cndmask_b32_e32 v45, 11, v45, vcc_lo
	v_cmp_ne_u32_e32 vcc_lo, 14, v26
	v_lshlrev_b16 v45, 8, v45
	v_cndmask_b32_e32 v46, 11, v46, vcc_lo
	v_cmp_ne_u32_e32 vcc_lo, 8, v26
	v_or_b32_sdwa v43, v46, v43 dst_sel:WORD_1 dst_unused:UNUSED_PAD src0_sel:BYTE_0 src1_sel:DWORD
	v_cndmask_b32_e32 v47, 11, v25, vcc_lo
	v_cmp_ne_u32_e32 vcc_lo, 11, v26
	v_lshrrev_b32_e32 v46, 24, v24
	v_or_b32_sdwa v30, v30, v43 dst_sel:DWORD dst_unused:UNUSED_PAD src0_sel:WORD_0 src1_sel:DWORD
	v_or_b32_sdwa v44, v47, v45 dst_sel:DWORD dst_unused:UNUSED_PAD src0_sel:BYTE_0 src1_sel:DWORD
	v_lshrrev_b32_e32 v45, 8, v24
	v_cndmask_b32_e32 v42, 11, v42, vcc_lo
	v_cmp_ne_u32_e32 vcc_lo, 5, v26
	v_lshrrev_b32_e32 v47, 16, v25
	v_lshlrev_b16 v42, 8, v42
	v_cndmask_b32_e32 v45, 11, v45, vcc_lo
	v_cmp_ne_u32_e32 vcc_lo, 7, v26
	v_lshlrev_b16 v45, 8, v45
	v_cndmask_b32_e32 v46, 11, v46, vcc_lo
	v_cmp_ne_u32_e32 vcc_lo, 4, v26
	;; [unrolled: 3-line block ×3, first 2 shown]
	v_or_b32_sdwa v45, v49, v45 dst_sel:DWORD dst_unused:UNUSED_PAD src0_sel:BYTE_0 src1_sel:DWORD
	v_cndmask_b32_e32 v48, 11, v48, vcc_lo
	v_cmp_ne_u32_e32 vcc_lo, 10, v26
	v_or_b32_sdwa v46, v48, v46 dst_sel:WORD_1 dst_unused:UNUSED_PAD src0_sel:BYTE_0 src1_sel:DWORD
	v_cndmask_b32_e32 v47, 11, v47, vcc_lo
	v_bfe_u32 v48, v19, 11, 1
	v_cmp_eq_u32_e32 vcc_lo, 0, v41
	v_or_b32_sdwa v41, v45, v46 dst_sel:DWORD dst_unused:UNUSED_PAD src0_sel:WORD_0 src1_sel:DWORD
	v_add_nc_u32_e32 v26, v26, v48
	v_cndmask_b32_e32 v22, v27, v22, vcc_lo
	v_or_b32_sdwa v27, v47, v42 dst_sel:WORD_1 dst_unused:UNUSED_PAD src0_sel:BYTE_0 src1_sel:DWORD
	v_cndmask_b32_e32 v24, v41, v24, vcc_lo
	v_cndmask_b32_e32 v20, v29, v20, vcc_lo
	v_cmp_ne_u32_e64 s6, 1, v26
	v_lshrrev_b32_e32 v42, 8, v22
	v_lshrrev_b32_e32 v43, 24, v22
	v_or_b32_sdwa v27, v44, v27 dst_sel:DWORD dst_unused:UNUSED_PAD src0_sel:WORD_0 src1_sel:DWORD
	v_cndmask_b32_e32 v21, v30, v21, vcc_lo
	v_cndmask_b32_e32 v23, v28, v23, vcc_lo
	v_cndmask_b32_e64 v41, 12, v42, s6
	v_cmp_ne_u32_e64 s6, 3, v26
	v_cndmask_b32_e32 v25, v27, v25, vcc_lo
	v_lshrrev_b32_e32 v28, 8, v20
	v_cmp_ne_u32_e32 vcc_lo, 21, v26
	v_lshlrev_b16 v41, 8, v41
	v_cndmask_b32_e64 v42, 12, v43, s6
	v_cmp_ne_u32_e64 s6, 0, v26
	v_lshrrev_b32_e32 v43, 16, v22
	v_cndmask_b32_e32 v28, 12, v28, vcc_lo
	v_cmp_ne_u32_e32 vcc_lo, 23, v26
	v_lshlrev_b16 v42, 8, v42
	v_cndmask_b32_e64 v44, 12, v22, s6
	v_cmp_ne_u32_e64 s6, 2, v26
	v_and_b32_e32 v30, 0x1000, v19
	v_lshlrev_b16 v28, 8, v28
	v_lshrrev_b32_e32 v45, 24, v21
	v_or_b32_sdwa v27, v44, v41 dst_sel:DWORD dst_unused:UNUSED_PAD src0_sel:BYTE_0 src1_sel:DWORD
	v_cndmask_b32_e64 v43, 12, v43, s6
	v_lshrrev_b32_e32 v41, 24, v20
	v_cmp_ne_u32_e64 s6, 17, v26
	v_lshrrev_b32_e32 v44, 16, v23
	v_lshrrev_b32_e32 v48, 16, v25
	v_or_b32_sdwa v29, v43, v42 dst_sel:WORD_1 dst_unused:UNUSED_PAD src0_sel:BYTE_0 src1_sel:DWORD
	v_lshrrev_b32_e32 v43, 8, v21
	v_lshrrev_b32_e32 v49, 8, v24
	;; [unrolled: 1-line block ×4, first 2 shown]
	v_or_b32_sdwa v27, v27, v29 dst_sel:DWORD dst_unused:UNUSED_PAD src0_sel:WORD_0 src1_sel:DWORD
	v_cndmask_b32_e32 v29, 12, v41, vcc_lo
	v_cmp_ne_u32_e32 vcc_lo, 20, v26
	v_lshrrev_b32_e32 v41, 16, v20
	v_lshlrev_b16 v29, 8, v29
	v_cndmask_b32_e32 v42, 12, v20, vcc_lo
	v_cmp_ne_u32_e32 vcc_lo, 22, v26
	v_or_b32_sdwa v28, v42, v28 dst_sel:DWORD dst_unused:UNUSED_PAD src0_sel:BYTE_0 src1_sel:DWORD
	v_cndmask_b32_e32 v41, 12, v41, vcc_lo
	v_cmp_eq_u32_e32 vcc_lo, 0, v30
	v_lshrrev_b32_e32 v30, 8, v23
	v_lshrrev_b32_e32 v42, 24, v23
	v_or_b32_sdwa v29, v41, v29 dst_sel:WORD_1 dst_unused:UNUSED_PAD src0_sel:BYTE_0 src1_sel:DWORD
	v_cndmask_b32_e32 v22, v27, v22, vcc_lo
	v_cndmask_b32_e64 v30, 12, v30, s6
	v_cmp_ne_u32_e64 s6, 19, v26
	v_or_b32_sdwa v28, v28, v29 dst_sel:DWORD dst_unused:UNUSED_PAD src0_sel:WORD_0 src1_sel:DWORD
	v_lshrrev_b32_e32 v27, 8, v22
	v_lshlrev_b16 v30, 8, v30
	v_cndmask_b32_e64 v41, 12, v42, s6
	v_cmp_ne_u32_e64 s6, 16, v26
	v_cndmask_b32_e32 v20, v28, v20, vcc_lo
	v_lshlrev_b16 v41, 8, v41
	v_cndmask_b32_e64 v42, 12, v23, s6
	v_cmp_ne_u32_e64 s6, 13, v26
	v_or_b32_sdwa v30, v42, v30 dst_sel:DWORD dst_unused:UNUSED_PAD src0_sel:BYTE_0 src1_sel:DWORD
	v_cndmask_b32_e64 v43, 12, v43, s6
	v_cmp_ne_u32_e64 s6, 18, v26
	v_lshlrev_b16 v43, 8, v43
	v_cndmask_b32_e64 v44, 12, v44, s6
	v_cmp_ne_u32_e64 s6, 12, v26
	v_or_b32_sdwa v41, v44, v41 dst_sel:WORD_1 dst_unused:UNUSED_PAD src0_sel:BYTE_0 src1_sel:DWORD
	v_cndmask_b32_e64 v46, 12, v21, s6
	v_cmp_ne_u32_e64 s6, 15, v26
	v_or_b32_sdwa v29, v30, v41 dst_sel:DWORD dst_unused:UNUSED_PAD src0_sel:WORD_0 src1_sel:DWORD
	v_or_b32_sdwa v42, v46, v43 dst_sel:DWORD dst_unused:UNUSED_PAD src0_sel:BYTE_0 src1_sel:DWORD
	v_cndmask_b32_e64 v45, 12, v45, s6
	v_lshrrev_b32_e32 v43, 8, v25
	v_cmp_ne_u32_e64 s6, 9, v26
	v_lshrrev_b32_e32 v46, 16, v21
	v_cndmask_b32_e32 v23, v29, v23, vcc_lo
	v_lshlrev_b16 v44, 8, v45
	v_lshrrev_b32_e32 v45, 24, v25
	v_cndmask_b32_e64 v43, 12, v43, s6
	v_cmp_ne_u32_e64 s6, 11, v26
	v_lshrrev_b32_e32 v29, 24, v22
	v_lshlrev_b16 v43, 8, v43
	v_cndmask_b32_e64 v45, 12, v45, s6
	v_cmp_ne_u32_e64 s6, 8, v26
	v_lshlrev_b16 v45, 8, v45
	v_cndmask_b32_e64 v47, 12, v25, s6
	v_cmp_ne_u32_e64 s6, 10, v26
	v_or_b32_sdwa v43, v47, v43 dst_sel:DWORD dst_unused:UNUSED_PAD src0_sel:BYTE_0 src1_sel:DWORD
	v_cndmask_b32_e64 v48, 12, v48, s6
	v_cmp_ne_u32_e64 s6, 5, v26
	v_or_b32_sdwa v45, v48, v45 dst_sel:WORD_1 dst_unused:UNUSED_PAD src0_sel:BYTE_0 src1_sel:DWORD
	v_cndmask_b32_e64 v49, 12, v49, s6
	v_cmp_ne_u32_e64 s6, 7, v26
	v_or_b32_sdwa v41, v43, v45 dst_sel:DWORD dst_unused:UNUSED_PAD src0_sel:WORD_0 src1_sel:DWORD
	v_lshlrev_b16 v49, 8, v49
	v_cndmask_b32_e64 v50, 12, v50, s6
	v_cmp_ne_u32_e64 s6, 4, v26
	v_bfe_u32 v43, v19, 12, 1
	v_cndmask_b32_e32 v25, v41, v25, vcc_lo
	v_and_b32_e32 v41, 0x2000, v19
	v_lshlrev_b16 v50, 8, v50
	v_cndmask_b32_e64 v52, 12, v24, s6
	v_cmp_ne_u32_e64 s6, 6, v26
	v_lshrrev_b32_e32 v45, 8, v25
	v_or_b32_sdwa v47, v52, v49 dst_sel:DWORD dst_unused:UNUSED_PAD src0_sel:BYTE_0 src1_sel:DWORD
	v_cndmask_b32_e64 v51, 12, v51, s6
	v_cmp_ne_u32_e64 s6, 14, v26
	v_add_nc_u32_e32 v26, v26, v43
	v_or_b32_sdwa v49, v51, v50 dst_sel:WORD_1 dst_unused:UNUSED_PAD src0_sel:BYTE_0 src1_sel:DWORD
	v_cndmask_b32_e64 v46, 12, v46, s6
	v_or_b32_sdwa v30, v47, v49 dst_sel:DWORD dst_unused:UNUSED_PAD src0_sel:WORD_0 src1_sel:DWORD
	v_or_b32_sdwa v44, v46, v44 dst_sel:WORD_1 dst_unused:UNUSED_PAD src0_sel:BYTE_0 src1_sel:DWORD
	v_cndmask_b32_e32 v24, v30, v24, vcc_lo
	v_or_b32_sdwa v42, v42, v44 dst_sel:DWORD dst_unused:UNUSED_PAD src0_sel:WORD_0 src1_sel:DWORD
	v_lshrrev_b32_e32 v48, 16, v24
	v_cndmask_b32_e32 v21, v42, v21, vcc_lo
	v_cmp_ne_u32_e32 vcc_lo, 1, v26
	v_lshrrev_b32_e32 v42, 8, v20
	v_lshrrev_b32_e32 v46, 16, v21
	v_cndmask_b32_e32 v27, 13, v27, vcc_lo
	v_cmp_ne_u32_e32 vcc_lo, 3, v26
	v_lshlrev_b16 v27, 8, v27
	v_cndmask_b32_e32 v28, 13, v29, vcc_lo
	v_cmp_ne_u32_e32 vcc_lo, 0, v26
	v_lshrrev_b32_e32 v29, 16, v22
	v_lshlrev_b16 v28, 8, v28
	v_cndmask_b32_e32 v30, 13, v22, vcc_lo
	v_cmp_ne_u32_e32 vcc_lo, 2, v26
	v_or_b32_sdwa v27, v30, v27 dst_sel:DWORD dst_unused:UNUSED_PAD src0_sel:BYTE_0 src1_sel:DWORD
	v_cndmask_b32_e32 v29, 13, v29, vcc_lo
	v_cmp_ne_u32_e32 vcc_lo, 21, v26
	v_lshrrev_b32_e32 v30, 24, v20
	v_or_b32_sdwa v28, v29, v28 dst_sel:WORD_1 dst_unused:UNUSED_PAD src0_sel:BYTE_0 src1_sel:DWORD
	v_cndmask_b32_e32 v29, 13, v42, vcc_lo
	v_cmp_ne_u32_e32 vcc_lo, 23, v26
	v_lshrrev_b32_e32 v42, 16, v20
	v_or_b32_sdwa v27, v27, v28 dst_sel:DWORD dst_unused:UNUSED_PAD src0_sel:WORD_0 src1_sel:DWORD
	v_lshlrev_b16 v29, 8, v29
	v_cndmask_b32_e32 v30, 13, v30, vcc_lo
	v_cmp_ne_u32_e32 vcc_lo, 20, v26
	v_lshrrev_b32_e32 v28, 8, v23
	v_lshlrev_b16 v30, 8, v30
	v_cndmask_b32_e32 v43, 13, v20, vcc_lo
	v_cmp_ne_u32_e32 vcc_lo, 22, v26
	v_or_b32_sdwa v29, v43, v29 dst_sel:DWORD dst_unused:UNUSED_PAD src0_sel:BYTE_0 src1_sel:DWORD
	v_cndmask_b32_e32 v42, 13, v42, vcc_lo
	v_cmp_ne_u32_e32 vcc_lo, 17, v26
	v_lshrrev_b32_e32 v43, 24, v23
	v_or_b32_sdwa v30, v42, v30 dst_sel:WORD_1 dst_unused:UNUSED_PAD src0_sel:BYTE_0 src1_sel:DWORD
	v_cndmask_b32_e32 v28, 13, v28, vcc_lo
	v_cmp_ne_u32_e32 vcc_lo, 19, v26
	v_or_b32_sdwa v29, v29, v30 dst_sel:DWORD dst_unused:UNUSED_PAD src0_sel:WORD_0 src1_sel:DWORD
	v_lshlrev_b16 v28, 8, v28
	v_cndmask_b32_e32 v42, 13, v43, vcc_lo
	v_cmp_ne_u32_e32 vcc_lo, 16, v26
	v_lshrrev_b32_e32 v43, 16, v23
	v_lshrrev_b32_e32 v30, 8, v21
	v_lshlrev_b16 v42, 8, v42
	v_cndmask_b32_e32 v44, 13, v23, vcc_lo
	v_cmp_ne_u32_e32 vcc_lo, 18, v26
	v_or_b32_sdwa v28, v44, v28 dst_sel:DWORD dst_unused:UNUSED_PAD src0_sel:BYTE_0 src1_sel:DWORD
	v_cndmask_b32_e32 v43, 13, v43, vcc_lo
	v_cmp_ne_u32_e32 vcc_lo, 13, v26
	v_lshrrev_b32_e32 v44, 24, v21
	v_or_b32_sdwa v42, v43, v42 dst_sel:WORD_1 dst_unused:UNUSED_PAD src0_sel:BYTE_0 src1_sel:DWORD
	v_cndmask_b32_e32 v30, 13, v30, vcc_lo
	v_cmp_ne_u32_e32 vcc_lo, 15, v26
	v_or_b32_sdwa v28, v28, v42 dst_sel:DWORD dst_unused:UNUSED_PAD src0_sel:WORD_0 src1_sel:DWORD
	v_lshlrev_b16 v30, 8, v30
	v_cndmask_b32_e32 v43, 13, v44, vcc_lo
	v_cmp_ne_u32_e32 vcc_lo, 12, v26
	v_lshrrev_b32_e32 v42, 24, v25
	v_lshlrev_b16 v43, 8, v43
	v_cndmask_b32_e32 v44, 13, v21, vcc_lo
	v_cmp_ne_u32_e32 vcc_lo, 9, v26
	v_or_b32_sdwa v30, v44, v30 dst_sel:DWORD dst_unused:UNUSED_PAD src0_sel:BYTE_0 src1_sel:DWORD
	v_cndmask_b32_e32 v45, 13, v45, vcc_lo
	v_cmp_ne_u32_e32 vcc_lo, 14, v26
	v_lshlrev_b16 v45, 8, v45
	v_cndmask_b32_e32 v46, 13, v46, vcc_lo
	v_cmp_ne_u32_e32 vcc_lo, 8, v26
	v_or_b32_sdwa v43, v46, v43 dst_sel:WORD_1 dst_unused:UNUSED_PAD src0_sel:BYTE_0 src1_sel:DWORD
	v_cndmask_b32_e32 v47, 13, v25, vcc_lo
	v_cmp_ne_u32_e32 vcc_lo, 11, v26
	v_lshrrev_b32_e32 v46, 24, v24
	v_or_b32_sdwa v30, v30, v43 dst_sel:DWORD dst_unused:UNUSED_PAD src0_sel:WORD_0 src1_sel:DWORD
	v_or_b32_sdwa v44, v47, v45 dst_sel:DWORD dst_unused:UNUSED_PAD src0_sel:BYTE_0 src1_sel:DWORD
	v_lshrrev_b32_e32 v45, 8, v24
	v_cndmask_b32_e32 v42, 13, v42, vcc_lo
	v_cmp_ne_u32_e32 vcc_lo, 5, v26
	v_lshrrev_b32_e32 v47, 16, v25
	v_lshlrev_b16 v42, 8, v42
	v_cndmask_b32_e32 v45, 13, v45, vcc_lo
	v_cmp_ne_u32_e32 vcc_lo, 7, v26
	v_lshlrev_b16 v45, 8, v45
	v_cndmask_b32_e32 v46, 13, v46, vcc_lo
	v_cmp_ne_u32_e32 vcc_lo, 4, v26
	;; [unrolled: 3-line block ×3, first 2 shown]
	v_or_b32_sdwa v45, v49, v45 dst_sel:DWORD dst_unused:UNUSED_PAD src0_sel:BYTE_0 src1_sel:DWORD
	v_cndmask_b32_e32 v48, 13, v48, vcc_lo
	v_cmp_ne_u32_e32 vcc_lo, 10, v26
	v_or_b32_sdwa v46, v48, v46 dst_sel:WORD_1 dst_unused:UNUSED_PAD src0_sel:BYTE_0 src1_sel:DWORD
	v_cndmask_b32_e32 v47, 13, v47, vcc_lo
	v_bfe_u32 v48, v19, 13, 1
	v_cmp_eq_u32_e32 vcc_lo, 0, v41
	v_or_b32_sdwa v41, v45, v46 dst_sel:DWORD dst_unused:UNUSED_PAD src0_sel:WORD_0 src1_sel:DWORD
	v_add_nc_u32_e32 v26, v26, v48
	v_cndmask_b32_e32 v22, v27, v22, vcc_lo
	v_or_b32_sdwa v27, v47, v42 dst_sel:WORD_1 dst_unused:UNUSED_PAD src0_sel:BYTE_0 src1_sel:DWORD
	v_cndmask_b32_e32 v24, v41, v24, vcc_lo
	v_cndmask_b32_e32 v20, v29, v20, vcc_lo
	v_cmp_ne_u32_e64 s6, 1, v26
	v_lshrrev_b32_e32 v42, 8, v22
	v_lshrrev_b32_e32 v43, 24, v22
	v_or_b32_sdwa v27, v44, v27 dst_sel:DWORD dst_unused:UNUSED_PAD src0_sel:WORD_0 src1_sel:DWORD
	v_cndmask_b32_e32 v21, v30, v21, vcc_lo
	v_cndmask_b32_e32 v23, v28, v23, vcc_lo
	v_cndmask_b32_e64 v41, 14, v42, s6
	v_cmp_ne_u32_e64 s6, 3, v26
	v_cndmask_b32_e32 v25, v27, v25, vcc_lo
	v_lshrrev_b32_e32 v28, 8, v20
	v_cmp_ne_u32_e32 vcc_lo, 21, v26
	v_lshlrev_b16 v41, 8, v41
	v_cndmask_b32_e64 v42, 14, v43, s6
	v_cmp_ne_u32_e64 s6, 0, v26
	v_lshrrev_b32_e32 v43, 16, v22
	v_cndmask_b32_e32 v28, 14, v28, vcc_lo
	v_cmp_ne_u32_e32 vcc_lo, 23, v26
	v_lshlrev_b16 v42, 8, v42
	v_cndmask_b32_e64 v44, 14, v22, s6
	v_cmp_ne_u32_e64 s6, 2, v26
	v_and_b32_e32 v30, 0x4000, v19
	v_lshlrev_b16 v28, 8, v28
	v_lshrrev_b32_e32 v45, 24, v21
	v_or_b32_sdwa v27, v44, v41 dst_sel:DWORD dst_unused:UNUSED_PAD src0_sel:BYTE_0 src1_sel:DWORD
	v_cndmask_b32_e64 v43, 14, v43, s6
	v_lshrrev_b32_e32 v41, 24, v20
	v_cmp_ne_u32_e64 s6, 17, v26
	v_lshrrev_b32_e32 v44, 16, v23
	v_lshrrev_b32_e32 v48, 16, v25
	v_or_b32_sdwa v29, v43, v42 dst_sel:WORD_1 dst_unused:UNUSED_PAD src0_sel:BYTE_0 src1_sel:DWORD
	v_lshrrev_b32_e32 v43, 8, v21
	v_lshrrev_b32_e32 v49, 8, v24
	v_lshrrev_b32_e32 v50, 24, v24
	v_lshrrev_b32_e32 v51, 16, v24
	v_or_b32_sdwa v27, v27, v29 dst_sel:DWORD dst_unused:UNUSED_PAD src0_sel:WORD_0 src1_sel:DWORD
	v_cndmask_b32_e32 v29, 14, v41, vcc_lo
	v_cmp_ne_u32_e32 vcc_lo, 20, v26
	v_lshrrev_b32_e32 v41, 16, v20
	v_lshlrev_b16 v29, 8, v29
	v_cndmask_b32_e32 v42, 14, v20, vcc_lo
	v_cmp_ne_u32_e32 vcc_lo, 22, v26
	v_or_b32_sdwa v28, v42, v28 dst_sel:DWORD dst_unused:UNUSED_PAD src0_sel:BYTE_0 src1_sel:DWORD
	v_cndmask_b32_e32 v41, 14, v41, vcc_lo
	v_cmp_eq_u32_e32 vcc_lo, 0, v30
	v_lshrrev_b32_e32 v30, 8, v23
	v_lshrrev_b32_e32 v42, 24, v23
	v_or_b32_sdwa v29, v41, v29 dst_sel:WORD_1 dst_unused:UNUSED_PAD src0_sel:BYTE_0 src1_sel:DWORD
	v_cndmask_b32_e32 v22, v27, v22, vcc_lo
	v_cndmask_b32_e64 v30, 14, v30, s6
	v_cmp_ne_u32_e64 s6, 19, v26
	v_or_b32_sdwa v28, v28, v29 dst_sel:DWORD dst_unused:UNUSED_PAD src0_sel:WORD_0 src1_sel:DWORD
	v_lshrrev_b32_e32 v27, 8, v22
	v_lshlrev_b16 v30, 8, v30
	v_cndmask_b32_e64 v41, 14, v42, s6
	v_cmp_ne_u32_e64 s6, 16, v26
	v_cndmask_b32_e32 v20, v28, v20, vcc_lo
	v_lshlrev_b16 v41, 8, v41
	v_cndmask_b32_e64 v42, 14, v23, s6
	v_cmp_ne_u32_e64 s6, 13, v26
	v_or_b32_sdwa v30, v42, v30 dst_sel:DWORD dst_unused:UNUSED_PAD src0_sel:BYTE_0 src1_sel:DWORD
	v_cndmask_b32_e64 v43, 14, v43, s6
	v_cmp_ne_u32_e64 s6, 18, v26
	v_lshlrev_b16 v43, 8, v43
	v_cndmask_b32_e64 v44, 14, v44, s6
	v_cmp_ne_u32_e64 s6, 12, v26
	v_or_b32_sdwa v41, v44, v41 dst_sel:WORD_1 dst_unused:UNUSED_PAD src0_sel:BYTE_0 src1_sel:DWORD
	v_cndmask_b32_e64 v46, 14, v21, s6
	v_cmp_ne_u32_e64 s6, 15, v26
	v_or_b32_sdwa v29, v30, v41 dst_sel:DWORD dst_unused:UNUSED_PAD src0_sel:WORD_0 src1_sel:DWORD
	v_or_b32_sdwa v42, v46, v43 dst_sel:DWORD dst_unused:UNUSED_PAD src0_sel:BYTE_0 src1_sel:DWORD
	v_cndmask_b32_e64 v45, 14, v45, s6
	v_lshrrev_b32_e32 v43, 8, v25
	v_cmp_ne_u32_e64 s6, 9, v26
	v_lshrrev_b32_e32 v46, 16, v21
	v_cndmask_b32_e32 v23, v29, v23, vcc_lo
	v_lshlrev_b16 v44, 8, v45
	v_lshrrev_b32_e32 v45, 24, v25
	v_cndmask_b32_e64 v43, 14, v43, s6
	v_cmp_ne_u32_e64 s6, 11, v26
	v_lshrrev_b32_e32 v29, 24, v22
	v_lshlrev_b16 v43, 8, v43
	v_cndmask_b32_e64 v45, 14, v45, s6
	v_cmp_ne_u32_e64 s6, 8, v26
	v_lshlrev_b16 v45, 8, v45
	v_cndmask_b32_e64 v47, 14, v25, s6
	v_cmp_ne_u32_e64 s6, 10, v26
	v_or_b32_sdwa v43, v47, v43 dst_sel:DWORD dst_unused:UNUSED_PAD src0_sel:BYTE_0 src1_sel:DWORD
	v_cndmask_b32_e64 v48, 14, v48, s6
	v_cmp_ne_u32_e64 s6, 5, v26
	v_or_b32_sdwa v45, v48, v45 dst_sel:WORD_1 dst_unused:UNUSED_PAD src0_sel:BYTE_0 src1_sel:DWORD
	v_cndmask_b32_e64 v49, 14, v49, s6
	v_cmp_ne_u32_e64 s6, 7, v26
	v_or_b32_sdwa v41, v43, v45 dst_sel:DWORD dst_unused:UNUSED_PAD src0_sel:WORD_0 src1_sel:DWORD
	v_lshlrev_b16 v49, 8, v49
	v_cndmask_b32_e64 v50, 14, v50, s6
	v_cmp_ne_u32_e64 s6, 4, v26
	v_bfe_u32 v43, v19, 14, 1
	v_cndmask_b32_e32 v25, v41, v25, vcc_lo
	v_and_b32_e32 v41, 0x8000, v19
	v_lshlrev_b16 v50, 8, v50
	v_cndmask_b32_e64 v52, 14, v24, s6
	v_cmp_ne_u32_e64 s6, 6, v26
	v_lshrrev_b32_e32 v45, 8, v25
	v_or_b32_sdwa v47, v52, v49 dst_sel:DWORD dst_unused:UNUSED_PAD src0_sel:BYTE_0 src1_sel:DWORD
	v_cndmask_b32_e64 v51, 14, v51, s6
	v_cmp_ne_u32_e64 s6, 14, v26
	v_add_nc_u32_e32 v26, v26, v43
	v_or_b32_sdwa v49, v51, v50 dst_sel:WORD_1 dst_unused:UNUSED_PAD src0_sel:BYTE_0 src1_sel:DWORD
	v_cndmask_b32_e64 v46, 14, v46, s6
	v_or_b32_sdwa v30, v47, v49 dst_sel:DWORD dst_unused:UNUSED_PAD src0_sel:WORD_0 src1_sel:DWORD
	v_or_b32_sdwa v44, v46, v44 dst_sel:WORD_1 dst_unused:UNUSED_PAD src0_sel:BYTE_0 src1_sel:DWORD
	v_cndmask_b32_e32 v24, v30, v24, vcc_lo
	v_or_b32_sdwa v42, v42, v44 dst_sel:DWORD dst_unused:UNUSED_PAD src0_sel:WORD_0 src1_sel:DWORD
	v_lshrrev_b32_e32 v48, 16, v24
	v_cndmask_b32_e32 v21, v42, v21, vcc_lo
	v_cmp_ne_u32_e32 vcc_lo, 1, v26
	v_lshrrev_b32_e32 v42, 8, v20
	v_lshrrev_b32_e32 v46, 16, v21
	v_cndmask_b32_e32 v27, 15, v27, vcc_lo
	v_cmp_ne_u32_e32 vcc_lo, 3, v26
	v_lshlrev_b16 v27, 8, v27
	v_cndmask_b32_e32 v28, 15, v29, vcc_lo
	v_cmp_ne_u32_e32 vcc_lo, 0, v26
	v_lshrrev_b32_e32 v29, 16, v22
	v_lshlrev_b16 v28, 8, v28
	v_cndmask_b32_e32 v30, 15, v22, vcc_lo
	v_cmp_ne_u32_e32 vcc_lo, 2, v26
	v_or_b32_sdwa v27, v30, v27 dst_sel:DWORD dst_unused:UNUSED_PAD src0_sel:BYTE_0 src1_sel:DWORD
	v_cndmask_b32_e32 v29, 15, v29, vcc_lo
	v_cmp_ne_u32_e32 vcc_lo, 21, v26
	v_lshrrev_b32_e32 v30, 24, v20
	v_or_b32_sdwa v28, v29, v28 dst_sel:WORD_1 dst_unused:UNUSED_PAD src0_sel:BYTE_0 src1_sel:DWORD
	v_cndmask_b32_e32 v29, 15, v42, vcc_lo
	v_cmp_ne_u32_e32 vcc_lo, 23, v26
	v_lshrrev_b32_e32 v42, 16, v20
	v_or_b32_sdwa v27, v27, v28 dst_sel:DWORD dst_unused:UNUSED_PAD src0_sel:WORD_0 src1_sel:DWORD
	v_lshlrev_b16 v29, 8, v29
	v_cndmask_b32_e32 v30, 15, v30, vcc_lo
	v_cmp_ne_u32_e32 vcc_lo, 20, v26
	v_lshrrev_b32_e32 v28, 8, v23
	v_lshlrev_b16 v30, 8, v30
	v_cndmask_b32_e32 v43, 15, v20, vcc_lo
	v_cmp_ne_u32_e32 vcc_lo, 22, v26
	v_or_b32_sdwa v29, v43, v29 dst_sel:DWORD dst_unused:UNUSED_PAD src0_sel:BYTE_0 src1_sel:DWORD
	v_cndmask_b32_e32 v42, 15, v42, vcc_lo
	v_cmp_ne_u32_e32 vcc_lo, 17, v26
	v_lshrrev_b32_e32 v43, 24, v23
	v_or_b32_sdwa v30, v42, v30 dst_sel:WORD_1 dst_unused:UNUSED_PAD src0_sel:BYTE_0 src1_sel:DWORD
	v_cndmask_b32_e32 v28, 15, v28, vcc_lo
	v_cmp_ne_u32_e32 vcc_lo, 19, v26
	v_or_b32_sdwa v29, v29, v30 dst_sel:DWORD dst_unused:UNUSED_PAD src0_sel:WORD_0 src1_sel:DWORD
	v_lshlrev_b16 v28, 8, v28
	v_cndmask_b32_e32 v42, 15, v43, vcc_lo
	v_cmp_ne_u32_e32 vcc_lo, 16, v26
	v_lshrrev_b32_e32 v43, 16, v23
	v_lshrrev_b32_e32 v30, 8, v21
	v_lshlrev_b16 v42, 8, v42
	v_cndmask_b32_e32 v44, 15, v23, vcc_lo
	v_cmp_ne_u32_e32 vcc_lo, 18, v26
	v_or_b32_sdwa v28, v44, v28 dst_sel:DWORD dst_unused:UNUSED_PAD src0_sel:BYTE_0 src1_sel:DWORD
	v_cndmask_b32_e32 v43, 15, v43, vcc_lo
	v_cmp_ne_u32_e32 vcc_lo, 13, v26
	v_lshrrev_b32_e32 v44, 24, v21
	v_or_b32_sdwa v42, v43, v42 dst_sel:WORD_1 dst_unused:UNUSED_PAD src0_sel:BYTE_0 src1_sel:DWORD
	v_cndmask_b32_e32 v30, 15, v30, vcc_lo
	v_cmp_ne_u32_e32 vcc_lo, 15, v26
	v_or_b32_sdwa v28, v28, v42 dst_sel:DWORD dst_unused:UNUSED_PAD src0_sel:WORD_0 src1_sel:DWORD
	v_lshlrev_b16 v30, 8, v30
	v_cndmask_b32_e32 v43, 15, v44, vcc_lo
	v_cmp_ne_u32_e32 vcc_lo, 12, v26
	v_lshrrev_b32_e32 v42, 24, v25
	v_lshlrev_b16 v43, 8, v43
	v_cndmask_b32_e32 v44, 15, v21, vcc_lo
	v_cmp_ne_u32_e32 vcc_lo, 9, v26
	v_or_b32_sdwa v30, v44, v30 dst_sel:DWORD dst_unused:UNUSED_PAD src0_sel:BYTE_0 src1_sel:DWORD
	v_cndmask_b32_e32 v45, 15, v45, vcc_lo
	v_cmp_ne_u32_e32 vcc_lo, 14, v26
	v_lshlrev_b16 v45, 8, v45
	v_cndmask_b32_e32 v46, 15, v46, vcc_lo
	v_cmp_ne_u32_e32 vcc_lo, 8, v26
	v_or_b32_sdwa v43, v46, v43 dst_sel:WORD_1 dst_unused:UNUSED_PAD src0_sel:BYTE_0 src1_sel:DWORD
	v_cndmask_b32_e32 v47, 15, v25, vcc_lo
	v_cmp_ne_u32_e32 vcc_lo, 11, v26
	v_lshrrev_b32_e32 v46, 24, v24
	v_or_b32_sdwa v30, v30, v43 dst_sel:DWORD dst_unused:UNUSED_PAD src0_sel:WORD_0 src1_sel:DWORD
	v_or_b32_sdwa v44, v47, v45 dst_sel:DWORD dst_unused:UNUSED_PAD src0_sel:BYTE_0 src1_sel:DWORD
	v_lshrrev_b32_e32 v45, 8, v24
	v_cndmask_b32_e32 v42, 15, v42, vcc_lo
	v_cmp_ne_u32_e32 vcc_lo, 5, v26
	v_lshrrev_b32_e32 v47, 16, v25
	v_lshlrev_b16 v42, 8, v42
	v_cndmask_b32_e32 v45, 15, v45, vcc_lo
	v_cmp_ne_u32_e32 vcc_lo, 7, v26
	v_lshlrev_b16 v45, 8, v45
	v_cndmask_b32_e32 v46, 15, v46, vcc_lo
	v_cmp_ne_u32_e32 vcc_lo, 4, v26
	;; [unrolled: 3-line block ×3, first 2 shown]
	v_or_b32_sdwa v45, v49, v45 dst_sel:DWORD dst_unused:UNUSED_PAD src0_sel:BYTE_0 src1_sel:DWORD
	v_cndmask_b32_e32 v48, 15, v48, vcc_lo
	v_cmp_ne_u32_e32 vcc_lo, 10, v26
	v_or_b32_sdwa v46, v48, v46 dst_sel:WORD_1 dst_unused:UNUSED_PAD src0_sel:BYTE_0 src1_sel:DWORD
	v_cndmask_b32_e32 v47, 15, v47, vcc_lo
	v_bfe_u32 v48, v19, 15, 1
	v_cmp_eq_u32_e32 vcc_lo, 0, v41
	v_or_b32_sdwa v41, v45, v46 dst_sel:DWORD dst_unused:UNUSED_PAD src0_sel:WORD_0 src1_sel:DWORD
	v_add_nc_u32_e32 v26, v26, v48
	v_cndmask_b32_e32 v22, v27, v22, vcc_lo
	v_or_b32_sdwa v27, v47, v42 dst_sel:WORD_1 dst_unused:UNUSED_PAD src0_sel:BYTE_0 src1_sel:DWORD
	v_cndmask_b32_e32 v24, v41, v24, vcc_lo
	v_cndmask_b32_e32 v20, v29, v20, vcc_lo
	v_cmp_ne_u32_e64 s6, 1, v26
	v_lshrrev_b32_e32 v42, 8, v22
	v_lshrrev_b32_e32 v43, 24, v22
	v_or_b32_sdwa v27, v44, v27 dst_sel:DWORD dst_unused:UNUSED_PAD src0_sel:WORD_0 src1_sel:DWORD
	v_cndmask_b32_e32 v21, v30, v21, vcc_lo
	v_cndmask_b32_e32 v23, v28, v23, vcc_lo
	v_cndmask_b32_e64 v41, 16, v42, s6
	v_cmp_ne_u32_e64 s6, 3, v26
	v_cndmask_b32_e32 v25, v27, v25, vcc_lo
	v_lshrrev_b32_e32 v28, 8, v20
	v_cmp_ne_u32_e32 vcc_lo, 21, v26
	v_lshlrev_b16 v41, 8, v41
	v_cndmask_b32_e64 v42, 16, v43, s6
	v_cmp_ne_u32_e64 s6, 0, v26
	v_lshrrev_b32_e32 v43, 16, v22
	v_cndmask_b32_e32 v28, 16, v28, vcc_lo
	v_cmp_ne_u32_e32 vcc_lo, 23, v26
	v_lshlrev_b16 v42, 8, v42
	v_cndmask_b32_e64 v44, 16, v22, s6
	v_cmp_ne_u32_e64 s6, 2, v26
	v_and_b32_e32 v30, 0x10000, v19
	v_lshlrev_b16 v28, 8, v28
	v_lshrrev_b32_e32 v45, 24, v21
	v_or_b32_sdwa v27, v44, v41 dst_sel:DWORD dst_unused:UNUSED_PAD src0_sel:BYTE_0 src1_sel:DWORD
	v_cndmask_b32_e64 v43, 16, v43, s6
	v_lshrrev_b32_e32 v41, 24, v20
	v_cmp_ne_u32_e64 s6, 17, v26
	v_lshrrev_b32_e32 v44, 16, v23
	v_lshrrev_b32_e32 v48, 16, v25
	v_or_b32_sdwa v29, v43, v42 dst_sel:WORD_1 dst_unused:UNUSED_PAD src0_sel:BYTE_0 src1_sel:DWORD
	v_lshrrev_b32_e32 v43, 8, v21
	v_lshrrev_b32_e32 v49, 8, v24
	;; [unrolled: 1-line block ×4, first 2 shown]
	v_or_b32_sdwa v27, v27, v29 dst_sel:DWORD dst_unused:UNUSED_PAD src0_sel:WORD_0 src1_sel:DWORD
	v_cndmask_b32_e32 v29, 16, v41, vcc_lo
	v_cmp_ne_u32_e32 vcc_lo, 20, v26
	v_lshrrev_b32_e32 v41, 16, v20
	v_lshlrev_b16 v29, 8, v29
	v_cndmask_b32_e32 v42, 16, v20, vcc_lo
	v_cmp_ne_u32_e32 vcc_lo, 22, v26
	v_or_b32_sdwa v28, v42, v28 dst_sel:DWORD dst_unused:UNUSED_PAD src0_sel:BYTE_0 src1_sel:DWORD
	v_cndmask_b32_e32 v41, 16, v41, vcc_lo
	v_cmp_eq_u32_e32 vcc_lo, 0, v30
	v_lshrrev_b32_e32 v30, 8, v23
	v_lshrrev_b32_e32 v42, 24, v23
	v_or_b32_sdwa v29, v41, v29 dst_sel:WORD_1 dst_unused:UNUSED_PAD src0_sel:BYTE_0 src1_sel:DWORD
	v_cndmask_b32_e32 v22, v27, v22, vcc_lo
	v_cndmask_b32_e64 v30, 16, v30, s6
	v_cmp_ne_u32_e64 s6, 19, v26
	v_or_b32_sdwa v28, v28, v29 dst_sel:DWORD dst_unused:UNUSED_PAD src0_sel:WORD_0 src1_sel:DWORD
	v_lshrrev_b32_e32 v27, 8, v22
	v_lshlrev_b16 v30, 8, v30
	v_cndmask_b32_e64 v41, 16, v42, s6
	v_cmp_ne_u32_e64 s6, 16, v26
	v_cndmask_b32_e32 v20, v28, v20, vcc_lo
	v_lshlrev_b16 v41, 8, v41
	v_cndmask_b32_e64 v42, 16, v23, s6
	v_cmp_ne_u32_e64 s6, 13, v26
	v_or_b32_sdwa v30, v42, v30 dst_sel:DWORD dst_unused:UNUSED_PAD src0_sel:BYTE_0 src1_sel:DWORD
	v_cndmask_b32_e64 v43, 16, v43, s6
	v_cmp_ne_u32_e64 s6, 18, v26
	v_lshlrev_b16 v43, 8, v43
	v_cndmask_b32_e64 v44, 16, v44, s6
	v_cmp_ne_u32_e64 s6, 12, v26
	v_or_b32_sdwa v41, v44, v41 dst_sel:WORD_1 dst_unused:UNUSED_PAD src0_sel:BYTE_0 src1_sel:DWORD
	v_cndmask_b32_e64 v46, 16, v21, s6
	v_cmp_ne_u32_e64 s6, 15, v26
	v_or_b32_sdwa v29, v30, v41 dst_sel:DWORD dst_unused:UNUSED_PAD src0_sel:WORD_0 src1_sel:DWORD
	v_or_b32_sdwa v42, v46, v43 dst_sel:DWORD dst_unused:UNUSED_PAD src0_sel:BYTE_0 src1_sel:DWORD
	v_cndmask_b32_e64 v45, 16, v45, s6
	v_lshrrev_b32_e32 v43, 8, v25
	v_cmp_ne_u32_e64 s6, 9, v26
	v_lshrrev_b32_e32 v46, 16, v21
	v_cndmask_b32_e32 v23, v29, v23, vcc_lo
	v_lshlrev_b16 v44, 8, v45
	v_lshrrev_b32_e32 v45, 24, v25
	v_cndmask_b32_e64 v43, 16, v43, s6
	v_cmp_ne_u32_e64 s6, 11, v26
	v_lshrrev_b32_e32 v29, 24, v22
	v_lshlrev_b16 v43, 8, v43
	v_cndmask_b32_e64 v45, 16, v45, s6
	v_cmp_ne_u32_e64 s6, 8, v26
	v_lshlrev_b16 v45, 8, v45
	v_cndmask_b32_e64 v47, 16, v25, s6
	v_cmp_ne_u32_e64 s6, 10, v26
	v_or_b32_sdwa v43, v47, v43 dst_sel:DWORD dst_unused:UNUSED_PAD src0_sel:BYTE_0 src1_sel:DWORD
	v_cndmask_b32_e64 v48, 16, v48, s6
	v_cmp_ne_u32_e64 s6, 5, v26
	v_or_b32_sdwa v45, v48, v45 dst_sel:WORD_1 dst_unused:UNUSED_PAD src0_sel:BYTE_0 src1_sel:DWORD
	v_cndmask_b32_e64 v49, 16, v49, s6
	v_cmp_ne_u32_e64 s6, 7, v26
	v_or_b32_sdwa v41, v43, v45 dst_sel:DWORD dst_unused:UNUSED_PAD src0_sel:WORD_0 src1_sel:DWORD
	v_lshlrev_b16 v49, 8, v49
	v_cndmask_b32_e64 v50, 16, v50, s6
	v_cmp_ne_u32_e64 s6, 4, v26
	v_bfe_u32 v43, v19, 16, 1
	v_cndmask_b32_e32 v25, v41, v25, vcc_lo
	v_and_b32_e32 v41, 0x20000, v19
	v_lshlrev_b16 v50, 8, v50
	v_cndmask_b32_e64 v52, 16, v24, s6
	v_cmp_ne_u32_e64 s6, 6, v26
	v_lshrrev_b32_e32 v45, 8, v25
	v_or_b32_sdwa v47, v52, v49 dst_sel:DWORD dst_unused:UNUSED_PAD src0_sel:BYTE_0 src1_sel:DWORD
	v_cndmask_b32_e64 v51, 16, v51, s6
	v_cmp_ne_u32_e64 s6, 14, v26
	v_add_nc_u32_e32 v26, v26, v43
	v_or_b32_sdwa v49, v51, v50 dst_sel:WORD_1 dst_unused:UNUSED_PAD src0_sel:BYTE_0 src1_sel:DWORD
	v_cndmask_b32_e64 v46, 16, v46, s6
	v_or_b32_sdwa v30, v47, v49 dst_sel:DWORD dst_unused:UNUSED_PAD src0_sel:WORD_0 src1_sel:DWORD
	v_or_b32_sdwa v44, v46, v44 dst_sel:WORD_1 dst_unused:UNUSED_PAD src0_sel:BYTE_0 src1_sel:DWORD
	v_cndmask_b32_e32 v24, v30, v24, vcc_lo
	v_or_b32_sdwa v42, v42, v44 dst_sel:DWORD dst_unused:UNUSED_PAD src0_sel:WORD_0 src1_sel:DWORD
	v_lshrrev_b32_e32 v48, 16, v24
	v_cndmask_b32_e32 v21, v42, v21, vcc_lo
	v_cmp_ne_u32_e32 vcc_lo, 1, v26
	v_lshrrev_b32_e32 v42, 8, v20
	v_lshrrev_b32_e32 v46, 16, v21
	v_cndmask_b32_e32 v27, 17, v27, vcc_lo
	v_cmp_ne_u32_e32 vcc_lo, 3, v26
	v_lshlrev_b16 v27, 8, v27
	v_cndmask_b32_e32 v28, 17, v29, vcc_lo
	v_cmp_ne_u32_e32 vcc_lo, 0, v26
	v_lshrrev_b32_e32 v29, 16, v22
	v_lshlrev_b16 v28, 8, v28
	v_cndmask_b32_e32 v30, 17, v22, vcc_lo
	v_cmp_ne_u32_e32 vcc_lo, 2, v26
	v_or_b32_sdwa v27, v30, v27 dst_sel:DWORD dst_unused:UNUSED_PAD src0_sel:BYTE_0 src1_sel:DWORD
	v_cndmask_b32_e32 v29, 17, v29, vcc_lo
	v_cmp_ne_u32_e32 vcc_lo, 21, v26
	v_lshrrev_b32_e32 v30, 24, v20
	v_or_b32_sdwa v28, v29, v28 dst_sel:WORD_1 dst_unused:UNUSED_PAD src0_sel:BYTE_0 src1_sel:DWORD
	v_cndmask_b32_e32 v29, 17, v42, vcc_lo
	v_cmp_ne_u32_e32 vcc_lo, 23, v26
	v_lshrrev_b32_e32 v42, 16, v20
	v_or_b32_sdwa v27, v27, v28 dst_sel:DWORD dst_unused:UNUSED_PAD src0_sel:WORD_0 src1_sel:DWORD
	v_lshlrev_b16 v29, 8, v29
	v_cndmask_b32_e32 v30, 17, v30, vcc_lo
	v_cmp_ne_u32_e32 vcc_lo, 20, v26
	v_lshrrev_b32_e32 v28, 8, v23
	v_lshlrev_b16 v30, 8, v30
	v_cndmask_b32_e32 v43, 17, v20, vcc_lo
	v_cmp_ne_u32_e32 vcc_lo, 22, v26
	v_or_b32_sdwa v29, v43, v29 dst_sel:DWORD dst_unused:UNUSED_PAD src0_sel:BYTE_0 src1_sel:DWORD
	v_cndmask_b32_e32 v42, 17, v42, vcc_lo
	v_cmp_ne_u32_e32 vcc_lo, 17, v26
	v_lshrrev_b32_e32 v43, 24, v23
	v_or_b32_sdwa v30, v42, v30 dst_sel:WORD_1 dst_unused:UNUSED_PAD src0_sel:BYTE_0 src1_sel:DWORD
	v_cndmask_b32_e32 v28, 17, v28, vcc_lo
	v_cmp_ne_u32_e32 vcc_lo, 19, v26
	v_or_b32_sdwa v29, v29, v30 dst_sel:DWORD dst_unused:UNUSED_PAD src0_sel:WORD_0 src1_sel:DWORD
	v_lshlrev_b16 v28, 8, v28
	v_cndmask_b32_e32 v42, 17, v43, vcc_lo
	v_cmp_ne_u32_e32 vcc_lo, 16, v26
	v_lshrrev_b32_e32 v43, 16, v23
	v_lshrrev_b32_e32 v30, 8, v21
	v_lshlrev_b16 v42, 8, v42
	v_cndmask_b32_e32 v44, 17, v23, vcc_lo
	v_cmp_ne_u32_e32 vcc_lo, 18, v26
	v_or_b32_sdwa v28, v44, v28 dst_sel:DWORD dst_unused:UNUSED_PAD src0_sel:BYTE_0 src1_sel:DWORD
	v_cndmask_b32_e32 v43, 17, v43, vcc_lo
	v_cmp_ne_u32_e32 vcc_lo, 13, v26
	v_lshrrev_b32_e32 v44, 24, v21
	v_or_b32_sdwa v42, v43, v42 dst_sel:WORD_1 dst_unused:UNUSED_PAD src0_sel:BYTE_0 src1_sel:DWORD
	v_cndmask_b32_e32 v30, 17, v30, vcc_lo
	v_cmp_ne_u32_e32 vcc_lo, 15, v26
	v_or_b32_sdwa v28, v28, v42 dst_sel:DWORD dst_unused:UNUSED_PAD src0_sel:WORD_0 src1_sel:DWORD
	v_lshlrev_b16 v30, 8, v30
	v_cndmask_b32_e32 v43, 17, v44, vcc_lo
	v_cmp_ne_u32_e32 vcc_lo, 12, v26
	v_lshrrev_b32_e32 v42, 24, v25
	v_lshlrev_b16 v43, 8, v43
	v_cndmask_b32_e32 v44, 17, v21, vcc_lo
	v_cmp_ne_u32_e32 vcc_lo, 9, v26
	v_or_b32_sdwa v30, v44, v30 dst_sel:DWORD dst_unused:UNUSED_PAD src0_sel:BYTE_0 src1_sel:DWORD
	v_cndmask_b32_e32 v45, 17, v45, vcc_lo
	v_cmp_ne_u32_e32 vcc_lo, 14, v26
	v_lshlrev_b16 v45, 8, v45
	v_cndmask_b32_e32 v46, 17, v46, vcc_lo
	v_cmp_ne_u32_e32 vcc_lo, 8, v26
	v_or_b32_sdwa v43, v46, v43 dst_sel:WORD_1 dst_unused:UNUSED_PAD src0_sel:BYTE_0 src1_sel:DWORD
	v_cndmask_b32_e32 v47, 17, v25, vcc_lo
	v_cmp_ne_u32_e32 vcc_lo, 11, v26
	v_lshrrev_b32_e32 v46, 24, v24
	v_or_b32_sdwa v30, v30, v43 dst_sel:DWORD dst_unused:UNUSED_PAD src0_sel:WORD_0 src1_sel:DWORD
	v_or_b32_sdwa v44, v47, v45 dst_sel:DWORD dst_unused:UNUSED_PAD src0_sel:BYTE_0 src1_sel:DWORD
	v_lshrrev_b32_e32 v45, 8, v24
	v_cndmask_b32_e32 v42, 17, v42, vcc_lo
	v_cmp_ne_u32_e32 vcc_lo, 5, v26
	v_lshrrev_b32_e32 v47, 16, v25
	v_lshlrev_b16 v42, 8, v42
	v_cndmask_b32_e32 v45, 17, v45, vcc_lo
	v_cmp_ne_u32_e32 vcc_lo, 7, v26
	v_lshlrev_b16 v45, 8, v45
	v_cndmask_b32_e32 v46, 17, v46, vcc_lo
	v_cmp_ne_u32_e32 vcc_lo, 4, v26
	;; [unrolled: 3-line block ×3, first 2 shown]
	v_or_b32_sdwa v45, v49, v45 dst_sel:DWORD dst_unused:UNUSED_PAD src0_sel:BYTE_0 src1_sel:DWORD
	v_cndmask_b32_e32 v48, 17, v48, vcc_lo
	v_cmp_ne_u32_e32 vcc_lo, 10, v26
	v_or_b32_sdwa v46, v48, v46 dst_sel:WORD_1 dst_unused:UNUSED_PAD src0_sel:BYTE_0 src1_sel:DWORD
	v_cndmask_b32_e32 v47, 17, v47, vcc_lo
	v_bfe_u32 v48, v19, 17, 1
	v_cmp_eq_u32_e32 vcc_lo, 0, v41
	v_or_b32_sdwa v41, v45, v46 dst_sel:DWORD dst_unused:UNUSED_PAD src0_sel:WORD_0 src1_sel:DWORD
	v_add_nc_u32_e32 v26, v26, v48
	v_cndmask_b32_e32 v22, v27, v22, vcc_lo
	v_or_b32_sdwa v27, v47, v42 dst_sel:WORD_1 dst_unused:UNUSED_PAD src0_sel:BYTE_0 src1_sel:DWORD
	v_cndmask_b32_e32 v24, v41, v24, vcc_lo
	v_cndmask_b32_e32 v20, v29, v20, vcc_lo
	v_cmp_ne_u32_e64 s6, 1, v26
	v_lshrrev_b32_e32 v42, 8, v22
	v_lshrrev_b32_e32 v43, 24, v22
	v_or_b32_sdwa v27, v44, v27 dst_sel:DWORD dst_unused:UNUSED_PAD src0_sel:WORD_0 src1_sel:DWORD
	v_cndmask_b32_e32 v21, v30, v21, vcc_lo
	v_cndmask_b32_e32 v23, v28, v23, vcc_lo
	v_cndmask_b32_e64 v41, 18, v42, s6
	v_cmp_ne_u32_e64 s6, 3, v26
	v_cndmask_b32_e32 v25, v27, v25, vcc_lo
	v_lshrrev_b32_e32 v28, 8, v20
	v_cmp_ne_u32_e32 vcc_lo, 21, v26
	v_lshlrev_b16 v41, 8, v41
	v_cndmask_b32_e64 v42, 18, v43, s6
	v_cmp_ne_u32_e64 s6, 0, v26
	v_lshrrev_b32_e32 v43, 16, v22
	v_cndmask_b32_e32 v28, 18, v28, vcc_lo
	v_cmp_ne_u32_e32 vcc_lo, 23, v26
	v_lshlrev_b16 v42, 8, v42
	v_cndmask_b32_e64 v44, 18, v22, s6
	v_cmp_ne_u32_e64 s6, 2, v26
	v_and_b32_e32 v30, 0x40000, v19
	v_lshlrev_b16 v28, 8, v28
	v_lshrrev_b32_e32 v45, 24, v21
	v_or_b32_sdwa v27, v44, v41 dst_sel:DWORD dst_unused:UNUSED_PAD src0_sel:BYTE_0 src1_sel:DWORD
	v_cndmask_b32_e64 v43, 18, v43, s6
	v_lshrrev_b32_e32 v41, 24, v20
	v_cmp_ne_u32_e64 s6, 17, v26
	v_lshrrev_b32_e32 v44, 16, v23
	v_lshrrev_b32_e32 v48, 16, v25
	v_or_b32_sdwa v29, v43, v42 dst_sel:WORD_1 dst_unused:UNUSED_PAD src0_sel:BYTE_0 src1_sel:DWORD
	v_lshrrev_b32_e32 v43, 8, v21
	v_lshrrev_b32_e32 v49, 8, v24
	v_lshrrev_b32_e32 v50, 24, v24
	v_lshrrev_b32_e32 v51, 16, v24
	v_or_b32_sdwa v27, v27, v29 dst_sel:DWORD dst_unused:UNUSED_PAD src0_sel:WORD_0 src1_sel:DWORD
	v_cndmask_b32_e32 v29, 18, v41, vcc_lo
	v_cmp_ne_u32_e32 vcc_lo, 20, v26
	v_lshrrev_b32_e32 v41, 16, v20
	v_lshlrev_b16 v29, 8, v29
	v_cndmask_b32_e32 v42, 18, v20, vcc_lo
	v_cmp_ne_u32_e32 vcc_lo, 22, v26
	v_or_b32_sdwa v28, v42, v28 dst_sel:DWORD dst_unused:UNUSED_PAD src0_sel:BYTE_0 src1_sel:DWORD
	v_cndmask_b32_e32 v41, 18, v41, vcc_lo
	v_cmp_eq_u32_e32 vcc_lo, 0, v30
	v_lshrrev_b32_e32 v30, 8, v23
	v_lshrrev_b32_e32 v42, 24, v23
	v_or_b32_sdwa v29, v41, v29 dst_sel:WORD_1 dst_unused:UNUSED_PAD src0_sel:BYTE_0 src1_sel:DWORD
	v_cndmask_b32_e32 v22, v27, v22, vcc_lo
	v_cndmask_b32_e64 v30, 18, v30, s6
	v_cmp_ne_u32_e64 s6, 19, v26
	v_or_b32_sdwa v28, v28, v29 dst_sel:DWORD dst_unused:UNUSED_PAD src0_sel:WORD_0 src1_sel:DWORD
	v_lshrrev_b32_e32 v27, 8, v22
	v_lshlrev_b16 v30, 8, v30
	v_cndmask_b32_e64 v41, 18, v42, s6
	v_cmp_ne_u32_e64 s6, 16, v26
	v_cndmask_b32_e32 v20, v28, v20, vcc_lo
	v_lshlrev_b16 v41, 8, v41
	v_cndmask_b32_e64 v42, 18, v23, s6
	v_cmp_ne_u32_e64 s6, 13, v26
	v_or_b32_sdwa v30, v42, v30 dst_sel:DWORD dst_unused:UNUSED_PAD src0_sel:BYTE_0 src1_sel:DWORD
	v_cndmask_b32_e64 v43, 18, v43, s6
	v_cmp_ne_u32_e64 s6, 18, v26
	v_lshlrev_b16 v43, 8, v43
	v_cndmask_b32_e64 v44, 18, v44, s6
	v_cmp_ne_u32_e64 s6, 12, v26
	v_or_b32_sdwa v41, v44, v41 dst_sel:WORD_1 dst_unused:UNUSED_PAD src0_sel:BYTE_0 src1_sel:DWORD
	v_cndmask_b32_e64 v46, 18, v21, s6
	v_cmp_ne_u32_e64 s6, 15, v26
	v_or_b32_sdwa v29, v30, v41 dst_sel:DWORD dst_unused:UNUSED_PAD src0_sel:WORD_0 src1_sel:DWORD
	v_or_b32_sdwa v42, v46, v43 dst_sel:DWORD dst_unused:UNUSED_PAD src0_sel:BYTE_0 src1_sel:DWORD
	v_cndmask_b32_e64 v45, 18, v45, s6
	v_lshrrev_b32_e32 v43, 8, v25
	v_cmp_ne_u32_e64 s6, 9, v26
	v_lshrrev_b32_e32 v46, 16, v21
	v_cndmask_b32_e32 v23, v29, v23, vcc_lo
	v_lshlrev_b16 v44, 8, v45
	v_lshrrev_b32_e32 v45, 24, v25
	v_cndmask_b32_e64 v43, 18, v43, s6
	v_cmp_ne_u32_e64 s6, 11, v26
	v_lshrrev_b32_e32 v29, 24, v22
	v_lshlrev_b16 v43, 8, v43
	v_cndmask_b32_e64 v45, 18, v45, s6
	v_cmp_ne_u32_e64 s6, 8, v26
	v_lshlrev_b16 v45, 8, v45
	v_cndmask_b32_e64 v47, 18, v25, s6
	v_cmp_ne_u32_e64 s6, 10, v26
	v_or_b32_sdwa v43, v47, v43 dst_sel:DWORD dst_unused:UNUSED_PAD src0_sel:BYTE_0 src1_sel:DWORD
	v_cndmask_b32_e64 v48, 18, v48, s6
	v_cmp_ne_u32_e64 s6, 5, v26
	v_or_b32_sdwa v45, v48, v45 dst_sel:WORD_1 dst_unused:UNUSED_PAD src0_sel:BYTE_0 src1_sel:DWORD
	v_cndmask_b32_e64 v49, 18, v49, s6
	v_cmp_ne_u32_e64 s6, 7, v26
	v_or_b32_sdwa v41, v43, v45 dst_sel:DWORD dst_unused:UNUSED_PAD src0_sel:WORD_0 src1_sel:DWORD
	v_lshlrev_b16 v49, 8, v49
	v_cndmask_b32_e64 v50, 18, v50, s6
	v_cmp_ne_u32_e64 s6, 4, v26
	v_bfe_u32 v43, v19, 18, 1
	v_cndmask_b32_e32 v25, v41, v25, vcc_lo
	v_and_b32_e32 v41, 0x80000, v19
	v_lshlrev_b16 v50, 8, v50
	v_cndmask_b32_e64 v52, 18, v24, s6
	v_cmp_ne_u32_e64 s6, 6, v26
	v_lshrrev_b32_e32 v45, 8, v25
	v_or_b32_sdwa v47, v52, v49 dst_sel:DWORD dst_unused:UNUSED_PAD src0_sel:BYTE_0 src1_sel:DWORD
	v_cndmask_b32_e64 v51, 18, v51, s6
	v_cmp_ne_u32_e64 s6, 14, v26
	v_add_nc_u32_e32 v26, v26, v43
	v_or_b32_sdwa v49, v51, v50 dst_sel:WORD_1 dst_unused:UNUSED_PAD src0_sel:BYTE_0 src1_sel:DWORD
	v_cndmask_b32_e64 v46, 18, v46, s6
	v_or_b32_sdwa v30, v47, v49 dst_sel:DWORD dst_unused:UNUSED_PAD src0_sel:WORD_0 src1_sel:DWORD
	v_or_b32_sdwa v44, v46, v44 dst_sel:WORD_1 dst_unused:UNUSED_PAD src0_sel:BYTE_0 src1_sel:DWORD
	v_cndmask_b32_e32 v24, v30, v24, vcc_lo
	v_or_b32_sdwa v42, v42, v44 dst_sel:DWORD dst_unused:UNUSED_PAD src0_sel:WORD_0 src1_sel:DWORD
	v_lshrrev_b32_e32 v48, 16, v24
	v_cndmask_b32_e32 v21, v42, v21, vcc_lo
	v_cmp_ne_u32_e32 vcc_lo, 1, v26
	v_lshrrev_b32_e32 v42, 8, v20
	v_lshrrev_b32_e32 v46, 16, v21
	v_cndmask_b32_e32 v27, 19, v27, vcc_lo
	v_cmp_ne_u32_e32 vcc_lo, 3, v26
	v_lshlrev_b16 v27, 8, v27
	v_cndmask_b32_e32 v28, 19, v29, vcc_lo
	v_cmp_ne_u32_e32 vcc_lo, 0, v26
	v_lshrrev_b32_e32 v29, 16, v22
	v_lshlrev_b16 v28, 8, v28
	v_cndmask_b32_e32 v30, 19, v22, vcc_lo
	v_cmp_ne_u32_e32 vcc_lo, 2, v26
	v_or_b32_sdwa v27, v30, v27 dst_sel:DWORD dst_unused:UNUSED_PAD src0_sel:BYTE_0 src1_sel:DWORD
	v_cndmask_b32_e32 v29, 19, v29, vcc_lo
	v_cmp_ne_u32_e32 vcc_lo, 21, v26
	v_lshrrev_b32_e32 v30, 24, v20
	v_or_b32_sdwa v28, v29, v28 dst_sel:WORD_1 dst_unused:UNUSED_PAD src0_sel:BYTE_0 src1_sel:DWORD
	v_cndmask_b32_e32 v29, 19, v42, vcc_lo
	v_cmp_ne_u32_e32 vcc_lo, 23, v26
	v_lshrrev_b32_e32 v42, 16, v20
	v_or_b32_sdwa v27, v27, v28 dst_sel:DWORD dst_unused:UNUSED_PAD src0_sel:WORD_0 src1_sel:DWORD
	v_lshlrev_b16 v29, 8, v29
	v_cndmask_b32_e32 v30, 19, v30, vcc_lo
	v_cmp_ne_u32_e32 vcc_lo, 20, v26
	v_lshrrev_b32_e32 v28, 8, v23
	v_lshlrev_b16 v30, 8, v30
	v_cndmask_b32_e32 v43, 19, v20, vcc_lo
	v_cmp_ne_u32_e32 vcc_lo, 22, v26
	v_or_b32_sdwa v29, v43, v29 dst_sel:DWORD dst_unused:UNUSED_PAD src0_sel:BYTE_0 src1_sel:DWORD
	v_cndmask_b32_e32 v42, 19, v42, vcc_lo
	v_cmp_ne_u32_e32 vcc_lo, 17, v26
	v_lshrrev_b32_e32 v43, 24, v23
	v_or_b32_sdwa v30, v42, v30 dst_sel:WORD_1 dst_unused:UNUSED_PAD src0_sel:BYTE_0 src1_sel:DWORD
	v_cndmask_b32_e32 v28, 19, v28, vcc_lo
	v_cmp_ne_u32_e32 vcc_lo, 19, v26
	v_or_b32_sdwa v29, v29, v30 dst_sel:DWORD dst_unused:UNUSED_PAD src0_sel:WORD_0 src1_sel:DWORD
	v_lshlrev_b16 v28, 8, v28
	v_cndmask_b32_e32 v42, 19, v43, vcc_lo
	v_cmp_ne_u32_e32 vcc_lo, 16, v26
	v_lshrrev_b32_e32 v43, 16, v23
	v_lshrrev_b32_e32 v30, 8, v21
	v_lshlrev_b16 v42, 8, v42
	v_cndmask_b32_e32 v44, 19, v23, vcc_lo
	v_cmp_ne_u32_e32 vcc_lo, 18, v26
	v_or_b32_sdwa v28, v44, v28 dst_sel:DWORD dst_unused:UNUSED_PAD src0_sel:BYTE_0 src1_sel:DWORD
	v_cndmask_b32_e32 v43, 19, v43, vcc_lo
	v_cmp_ne_u32_e32 vcc_lo, 13, v26
	v_lshrrev_b32_e32 v44, 24, v21
	v_or_b32_sdwa v42, v43, v42 dst_sel:WORD_1 dst_unused:UNUSED_PAD src0_sel:BYTE_0 src1_sel:DWORD
	v_cndmask_b32_e32 v30, 19, v30, vcc_lo
	v_cmp_ne_u32_e32 vcc_lo, 15, v26
	v_or_b32_sdwa v28, v28, v42 dst_sel:DWORD dst_unused:UNUSED_PAD src0_sel:WORD_0 src1_sel:DWORD
	v_lshlrev_b16 v30, 8, v30
	v_cndmask_b32_e32 v43, 19, v44, vcc_lo
	v_cmp_ne_u32_e32 vcc_lo, 12, v26
	v_lshrrev_b32_e32 v42, 24, v25
	v_lshlrev_b16 v43, 8, v43
	v_cndmask_b32_e32 v44, 19, v21, vcc_lo
	v_cmp_ne_u32_e32 vcc_lo, 9, v26
	v_or_b32_sdwa v30, v44, v30 dst_sel:DWORD dst_unused:UNUSED_PAD src0_sel:BYTE_0 src1_sel:DWORD
	v_cndmask_b32_e32 v45, 19, v45, vcc_lo
	v_cmp_ne_u32_e32 vcc_lo, 14, v26
	v_lshlrev_b16 v45, 8, v45
	v_cndmask_b32_e32 v46, 19, v46, vcc_lo
	v_cmp_ne_u32_e32 vcc_lo, 8, v26
	v_or_b32_sdwa v43, v46, v43 dst_sel:WORD_1 dst_unused:UNUSED_PAD src0_sel:BYTE_0 src1_sel:DWORD
	v_cndmask_b32_e32 v47, 19, v25, vcc_lo
	v_cmp_ne_u32_e32 vcc_lo, 11, v26
	v_lshrrev_b32_e32 v46, 24, v24
	v_or_b32_sdwa v30, v30, v43 dst_sel:DWORD dst_unused:UNUSED_PAD src0_sel:WORD_0 src1_sel:DWORD
	v_or_b32_sdwa v44, v47, v45 dst_sel:DWORD dst_unused:UNUSED_PAD src0_sel:BYTE_0 src1_sel:DWORD
	v_lshrrev_b32_e32 v45, 8, v24
	v_cndmask_b32_e32 v42, 19, v42, vcc_lo
	v_cmp_ne_u32_e32 vcc_lo, 5, v26
	v_lshrrev_b32_e32 v47, 16, v25
	v_lshlrev_b16 v42, 8, v42
	v_cndmask_b32_e32 v45, 19, v45, vcc_lo
	v_cmp_ne_u32_e32 vcc_lo, 7, v26
	v_lshlrev_b16 v45, 8, v45
	v_cndmask_b32_e32 v46, 19, v46, vcc_lo
	v_cmp_ne_u32_e32 vcc_lo, 4, v26
	;; [unrolled: 3-line block ×3, first 2 shown]
	v_or_b32_sdwa v45, v49, v45 dst_sel:DWORD dst_unused:UNUSED_PAD src0_sel:BYTE_0 src1_sel:DWORD
	v_cndmask_b32_e32 v48, 19, v48, vcc_lo
	v_cmp_ne_u32_e32 vcc_lo, 10, v26
	v_or_b32_sdwa v46, v48, v46 dst_sel:WORD_1 dst_unused:UNUSED_PAD src0_sel:BYTE_0 src1_sel:DWORD
	v_cndmask_b32_e32 v47, 19, v47, vcc_lo
	v_bfe_u32 v48, v19, 19, 1
	v_cmp_eq_u32_e32 vcc_lo, 0, v41
	v_or_b32_sdwa v41, v45, v46 dst_sel:DWORD dst_unused:UNUSED_PAD src0_sel:WORD_0 src1_sel:DWORD
	v_add_nc_u32_e32 v26, v26, v48
	v_cndmask_b32_e32 v22, v27, v22, vcc_lo
	v_or_b32_sdwa v27, v47, v42 dst_sel:WORD_1 dst_unused:UNUSED_PAD src0_sel:BYTE_0 src1_sel:DWORD
	v_cndmask_b32_e32 v24, v41, v24, vcc_lo
	v_cndmask_b32_e32 v20, v29, v20, vcc_lo
	v_cmp_ne_u32_e64 s6, 1, v26
	v_lshrrev_b32_e32 v42, 8, v22
	v_lshrrev_b32_e32 v43, 24, v22
	v_or_b32_sdwa v27, v44, v27 dst_sel:DWORD dst_unused:UNUSED_PAD src0_sel:WORD_0 src1_sel:DWORD
	v_cndmask_b32_e32 v21, v30, v21, vcc_lo
	v_cndmask_b32_e32 v23, v28, v23, vcc_lo
	v_cndmask_b32_e64 v41, 20, v42, s6
	v_cmp_ne_u32_e64 s6, 3, v26
	v_cndmask_b32_e32 v25, v27, v25, vcc_lo
	v_lshrrev_b32_e32 v28, 8, v20
	v_cmp_ne_u32_e32 vcc_lo, 21, v26
	v_lshlrev_b16 v41, 8, v41
	v_cndmask_b32_e64 v42, 20, v43, s6
	v_cmp_ne_u32_e64 s6, 0, v26
	v_lshrrev_b32_e32 v43, 16, v22
	v_cndmask_b32_e32 v28, 20, v28, vcc_lo
	v_cmp_ne_u32_e32 vcc_lo, 23, v26
	v_lshlrev_b16 v42, 8, v42
	v_cndmask_b32_e64 v44, 20, v22, s6
	v_cmp_ne_u32_e64 s6, 2, v26
	v_and_b32_e32 v30, 0x100000, v19
	v_lshlrev_b16 v28, 8, v28
	v_lshrrev_b32_e32 v45, 24, v25
	v_or_b32_sdwa v27, v44, v41 dst_sel:DWORD dst_unused:UNUSED_PAD src0_sel:BYTE_0 src1_sel:DWORD
	v_cndmask_b32_e64 v43, 20, v43, s6
	v_lshrrev_b32_e32 v41, 24, v20
	v_cmp_ne_u32_e64 s6, 17, v26
	v_lshrrev_b32_e32 v44, 8, v25
	v_lshrrev_b32_e32 v48, 16, v25
	v_or_b32_sdwa v29, v43, v42 dst_sel:WORD_1 dst_unused:UNUSED_PAD src0_sel:BYTE_0 src1_sel:DWORD
	v_lshrrev_b32_e32 v49, 8, v24
	v_lshrrev_b32_e32 v50, 24, v24
	v_lshrrev_b32_e32 v51, 16, v24
	v_lshrrev_b32_e32 v46, 16, v21
	v_or_b32_sdwa v27, v27, v29 dst_sel:DWORD dst_unused:UNUSED_PAD src0_sel:WORD_0 src1_sel:DWORD
	v_cndmask_b32_e32 v29, 20, v41, vcc_lo
	v_cmp_ne_u32_e32 vcc_lo, 20, v26
	v_lshrrev_b32_e32 v41, 16, v20
	v_lshlrev_b16 v29, 8, v29
	v_cndmask_b32_e32 v42, 20, v20, vcc_lo
	v_cmp_ne_u32_e32 vcc_lo, 22, v26
	v_or_b32_sdwa v28, v42, v28 dst_sel:DWORD dst_unused:UNUSED_PAD src0_sel:BYTE_0 src1_sel:DWORD
	v_cndmask_b32_e32 v41, 20, v41, vcc_lo
	v_cmp_eq_u32_e32 vcc_lo, 0, v30
	v_lshrrev_b32_e32 v30, 8, v23
	v_lshrrev_b32_e32 v42, 24, v23
	v_or_b32_sdwa v29, v41, v29 dst_sel:WORD_1 dst_unused:UNUSED_PAD src0_sel:BYTE_0 src1_sel:DWORD
	v_cndmask_b32_e32 v22, v27, v22, vcc_lo
	v_cndmask_b32_e64 v30, 20, v30, s6
	v_cmp_ne_u32_e64 s6, 19, v26
	v_or_b32_sdwa v28, v28, v29 dst_sel:DWORD dst_unused:UNUSED_PAD src0_sel:WORD_0 src1_sel:DWORD
	v_lshrrev_b32_e32 v29, 8, v21
	v_lshlrev_b16 v30, 8, v30
	v_cndmask_b32_e64 v41, 20, v42, s6
	v_cmp_ne_u32_e64 s6, 16, v26
	v_lshrrev_b32_e32 v42, 16, v23
	v_cndmask_b32_e32 v20, v28, v20, vcc_lo
	v_lshlrev_b16 v41, 8, v41
	v_cndmask_b32_e64 v43, 20, v23, s6
	v_cmp_ne_u32_e64 s6, 18, v26
	v_or_b32_sdwa v30, v43, v30 dst_sel:DWORD dst_unused:UNUSED_PAD src0_sel:BYTE_0 src1_sel:DWORD
	v_cndmask_b32_e64 v42, 20, v42, s6
	v_cmp_ne_u32_e64 s6, 13, v26
	v_lshrrev_b32_e32 v43, 24, v21
	v_or_b32_sdwa v41, v42, v41 dst_sel:WORD_1 dst_unused:UNUSED_PAD src0_sel:BYTE_0 src1_sel:DWORD
	v_cndmask_b32_e64 v29, 20, v29, s6
	v_cmp_ne_u32_e64 s6, 15, v26
	v_or_b32_sdwa v30, v30, v41 dst_sel:DWORD dst_unused:UNUSED_PAD src0_sel:WORD_0 src1_sel:DWORD
	v_lshlrev_b16 v29, 8, v29
	v_cndmask_b32_e64 v42, 20, v43, s6
	v_cmp_ne_u32_e64 s6, 12, v26
	v_cndmask_b32_e32 v23, v30, v23, vcc_lo
	v_lshrrev_b32_e32 v30, 24, v20
	v_lshlrev_b16 v42, 8, v42
	v_cndmask_b32_e64 v43, 20, v21, s6
	v_cmp_ne_u32_e64 s6, 9, v26
	v_or_b32_sdwa v29, v43, v29 dst_sel:DWORD dst_unused:UNUSED_PAD src0_sel:BYTE_0 src1_sel:DWORD
	v_cndmask_b32_e64 v44, 20, v44, s6
	v_cmp_ne_u32_e64 s6, 11, v26
	v_lshlrev_b16 v44, 8, v44
	v_cndmask_b32_e64 v45, 20, v45, s6
	v_cmp_ne_u32_e64 s6, 8, v26
	v_lshlrev_b16 v45, 8, v45
	v_cndmask_b32_e64 v47, 20, v25, s6
	v_cmp_ne_u32_e64 s6, 10, v26
	v_or_b32_sdwa v44, v47, v44 dst_sel:DWORD dst_unused:UNUSED_PAD src0_sel:BYTE_0 src1_sel:DWORD
	v_cndmask_b32_e64 v48, 20, v48, s6
	v_cmp_ne_u32_e64 s6, 5, v26
	v_or_b32_sdwa v45, v48, v45 dst_sel:WORD_1 dst_unused:UNUSED_PAD src0_sel:BYTE_0 src1_sel:DWORD
	v_cndmask_b32_e64 v49, 20, v49, s6
	v_cmp_ne_u32_e64 s6, 7, v26
	v_or_b32_sdwa v43, v44, v45 dst_sel:DWORD dst_unused:UNUSED_PAD src0_sel:WORD_0 src1_sel:DWORD
	v_bfe_u32 v44, v19, 20, 1
	v_cndmask_b32_e64 v50, 20, v50, s6
	v_cmp_ne_u32_e64 s6, 4, v26
	v_lshlrev_b16 v49, 8, v49
	v_cndmask_b32_e32 v25, v43, v25, vcc_lo
	v_lshrrev_b32_e32 v43, 24, v23
	v_lshlrev_b16 v50, 8, v50
	v_cndmask_b32_e64 v52, 20, v24, s6
	v_cmp_ne_u32_e64 s6, 6, v26
	v_lshrrev_b32_e32 v45, 16, v23
	v_or_b32_sdwa v47, v52, v49 dst_sel:DWORD dst_unused:UNUSED_PAD src0_sel:BYTE_0 src1_sel:DWORD
	v_cndmask_b32_e64 v51, 20, v51, s6
	v_cmp_ne_u32_e64 s6, 14, v26
	v_add_nc_u32_e32 v26, v26, v44
	v_or_b32_sdwa v49, v51, v50 dst_sel:WORD_1 dst_unused:UNUSED_PAD src0_sel:BYTE_0 src1_sel:DWORD
	v_cndmask_b32_e64 v46, 20, v46, s6
	v_cmp_ne_u32_e64 s6, 1, v26
	v_or_b32_sdwa v41, v46, v42 dst_sel:WORD_1 dst_unused:UNUSED_PAD src0_sel:BYTE_0 src1_sel:DWORD
	v_or_b32_sdwa v42, v47, v49 dst_sel:DWORD dst_unused:UNUSED_PAD src0_sel:WORD_0 src1_sel:DWORD
	v_lshrrev_b32_e32 v49, 16, v25
	v_or_b32_sdwa v27, v29, v41 dst_sel:DWORD dst_unused:UNUSED_PAD src0_sel:WORD_0 src1_sel:DWORD
	v_lshrrev_b32_e32 v29, 8, v22
	v_cndmask_b32_e32 v24, v42, v24, vcc_lo
	v_lshrrev_b32_e32 v41, 16, v22
	v_lshrrev_b32_e32 v42, 8, v20
	v_cndmask_b32_e32 v21, v27, v21, vcc_lo
	v_lshrrev_b32_e32 v27, 24, v22
	v_cndmask_b32_e64 v28, 21, v29, s6
	v_cmp_ne_u32_e64 s6, 3, v26
	v_cmp_ne_u32_e32 vcc_lo, 21, v26
	v_lshrrev_b32_e32 v46, 8, v21
	v_lshrrev_b32_e32 v47, 8, v24
	v_lshlrev_b16 v28, 8, v28
	v_cndmask_b32_e64 v27, 21, v27, s6
	v_cmp_ne_u32_e64 s6, 0, v26
	v_lshrrev_b32_e32 v48, 24, v24
	v_lshrrev_b32_e32 v50, 16, v24
	v_lshlrev_b16 v27, 8, v27
	v_cndmask_b32_e64 v29, 21, v22, s6
	v_cmp_ne_u32_e64 s6, 2, v26
	v_or_b32_sdwa v28, v29, v28 dst_sel:DWORD dst_unused:UNUSED_PAD src0_sel:BYTE_0 src1_sel:DWORD
	v_cndmask_b32_e64 v41, 21, v41, s6
	v_cndmask_b32_e32 v29, 21, v42, vcc_lo
	v_cmp_ne_u32_e32 vcc_lo, 20, v26
	v_and_b32_e32 v42, 0x200000, v19
	v_or_b32_sdwa v27, v41, v27 dst_sel:WORD_1 dst_unused:UNUSED_PAD src0_sel:BYTE_0 src1_sel:DWORD
	v_lshlrev_b16 v29, 8, v29
	v_cndmask_b32_e32 v41, 21, v20, vcc_lo
	v_cmp_ne_u32_e32 vcc_lo, 23, v26
	v_or_b32_sdwa v27, v28, v27 dst_sel:DWORD dst_unused:UNUSED_PAD src0_sel:WORD_0 src1_sel:DWORD
	v_or_b32_sdwa v28, v41, v29 dst_sel:DWORD dst_unused:UNUSED_PAD src0_sel:BYTE_0 src1_sel:DWORD
	v_cndmask_b32_e32 v30, 21, v30, vcc_lo
	v_lshrrev_b32_e32 v29, 16, v20
	v_cmp_ne_u32_e32 vcc_lo, 22, v26
	v_lshrrev_b32_e32 v41, 8, v23
	v_lshlrev_b16 v30, 8, v30
	v_cndmask_b32_e32 v29, 21, v29, vcc_lo
	v_cmp_ne_u32_e32 vcc_lo, 17, v26
	v_or_b32_sdwa v29, v29, v30 dst_sel:WORD_1 dst_unused:UNUSED_PAD src0_sel:BYTE_0 src1_sel:DWORD
	v_cndmask_b32_e32 v41, 21, v41, vcc_lo
	v_cmp_ne_u32_e32 vcc_lo, 19, v26
	v_or_b32_sdwa v28, v28, v29 dst_sel:DWORD dst_unused:UNUSED_PAD src0_sel:WORD_0 src1_sel:DWORD
	v_lshlrev_b16 v41, 8, v41
	v_cndmask_b32_e32 v43, 21, v43, vcc_lo
	v_cmp_ne_u32_e32 vcc_lo, 16, v26
	v_lshlrev_b16 v43, 8, v43
	v_cndmask_b32_e32 v44, 21, v23, vcc_lo
	v_cmp_ne_u32_e32 vcc_lo, 18, v26
	v_or_b32_sdwa v30, v44, v41 dst_sel:DWORD dst_unused:UNUSED_PAD src0_sel:BYTE_0 src1_sel:DWORD
	v_cndmask_b32_e32 v45, 21, v45, vcc_lo
	v_cmp_ne_u32_e32 vcc_lo, 13, v26
	v_lshrrev_b32_e32 v44, 24, v21
	v_or_b32_sdwa v43, v45, v43 dst_sel:WORD_1 dst_unused:UNUSED_PAD src0_sel:BYTE_0 src1_sel:DWORD
	v_cndmask_b32_e32 v41, 21, v46, vcc_lo
	v_cmp_ne_u32_e32 vcc_lo, 12, v26
	v_or_b32_sdwa v29, v30, v43 dst_sel:DWORD dst_unused:UNUSED_PAD src0_sel:WORD_0 src1_sel:DWORD
	v_lshlrev_b16 v41, 8, v41
	v_cndmask_b32_e32 v45, 21, v21, vcc_lo
	v_cmp_ne_u32_e32 vcc_lo, 15, v26
	v_or_b32_sdwa v30, v45, v41 dst_sel:DWORD dst_unused:UNUSED_PAD src0_sel:BYTE_0 src1_sel:DWORD
	v_cndmask_b32_e32 v44, 21, v44, vcc_lo
	v_lshrrev_b32_e32 v41, 16, v21
	v_cmp_ne_u32_e32 vcc_lo, 14, v26
	v_lshrrev_b32_e32 v45, 24, v25
	v_lshlrev_b16 v43, 8, v44
	v_lshrrev_b32_e32 v44, 8, v25
	v_cndmask_b32_e32 v41, 21, v41, vcc_lo
	v_cmp_ne_u32_e32 vcc_lo, 9, v26
	v_or_b32_sdwa v41, v41, v43 dst_sel:WORD_1 dst_unused:UNUSED_PAD src0_sel:BYTE_0 src1_sel:DWORD
	v_cndmask_b32_e32 v44, 21, v44, vcc_lo
	v_cmp_ne_u32_e32 vcc_lo, 11, v26
	v_or_b32_sdwa v30, v30, v41 dst_sel:DWORD dst_unused:UNUSED_PAD src0_sel:WORD_0 src1_sel:DWORD
	v_lshlrev_b16 v44, 8, v44
	v_cndmask_b32_e32 v45, 21, v45, vcc_lo
	v_cmp_ne_u32_e32 vcc_lo, 8, v26
	v_lshlrev_b16 v45, 8, v45
	v_cndmask_b32_e32 v46, 21, v25, vcc_lo
	v_cmp_ne_u32_e32 vcc_lo, 5, v26
	v_or_b32_sdwa v43, v46, v44 dst_sel:DWORD dst_unused:UNUSED_PAD src0_sel:BYTE_0 src1_sel:DWORD
	v_cndmask_b32_e32 v47, 21, v47, vcc_lo
	v_cmp_ne_u32_e32 vcc_lo, 7, v26
	v_lshlrev_b16 v47, 8, v47
	v_cndmask_b32_e32 v48, 21, v48, vcc_lo
	v_cmp_ne_u32_e32 vcc_lo, 4, v26
	v_lshlrev_b16 v48, 8, v48
	v_cndmask_b32_e32 v51, 21, v24, vcc_lo
	v_cmp_ne_u32_e32 vcc_lo, 6, v26
	v_or_b32_sdwa v44, v51, v47 dst_sel:DWORD dst_unused:UNUSED_PAD src0_sel:BYTE_0 src1_sel:DWORD
	v_cndmask_b32_e32 v50, 21, v50, vcc_lo
	v_cmp_ne_u32_e32 vcc_lo, 10, v26
	v_bfe_u32 v47, v19, 21, 1
	v_or_b32_sdwa v46, v50, v48 dst_sel:WORD_1 dst_unused:UNUSED_PAD src0_sel:BYTE_0 src1_sel:DWORD
	v_cndmask_b32_e32 v49, 21, v49, vcc_lo
	v_cmp_eq_u32_e32 vcc_lo, 0, v42
	v_add_nc_u32_e32 v26, v26, v47
	v_or_b32_sdwa v45, v49, v45 dst_sel:WORD_1 dst_unused:UNUSED_PAD src0_sel:BYTE_0 src1_sel:DWORD
	v_cndmask_b32_e32 v22, v27, v22, vcc_lo
	v_or_b32_sdwa v27, v44, v46 dst_sel:DWORD dst_unused:UNUSED_PAD src0_sel:WORD_0 src1_sel:DWORD
	v_cmp_ne_u32_e64 s6, 1, v26
	v_cndmask_b32_e32 v21, v30, v21, vcc_lo
	v_or_b32_sdwa v42, v43, v45 dst_sel:DWORD dst_unused:UNUSED_PAD src0_sel:WORD_0 src1_sel:DWORD
	v_lshrrev_b32_e32 v41, 8, v22
	v_cndmask_b32_e32 v24, v27, v24, vcc_lo
	v_cndmask_b32_e32 v23, v29, v23, vcc_lo
	;; [unrolled: 1-line block ×4, first 2 shown]
	v_cndmask_b32_e64 v27, 22, v41, s6
	v_cmp_ne_u32_e64 s6, 0, v26
	v_cmp_ne_u32_e32 vcc_lo, 2, v26
	v_lshrrev_b32_e32 v41, 8, v20
	v_lshrrev_b32_e32 v42, 24, v20
	v_lshlrev_b16 v27, 8, v27
	v_cndmask_b32_e64 v30, 22, v22, s6
	v_lshrrev_b32_e32 v29, 24, v22
	v_cmp_ne_u32_e64 s6, 3, v26
	v_lshrrev_b32_e32 v44, 16, v20
	v_lshrrev_b32_e32 v45, 8, v23
	v_or_b32_sdwa v27, v30, v27 dst_sel:DWORD dst_unused:UNUSED_PAD src0_sel:BYTE_0 src1_sel:DWORD
	v_lshrrev_b32_e32 v30, 16, v22
	v_cndmask_b32_e64 v29, 22, v29, s6
	v_lshrrev_b32_e32 v46, 16, v21
	v_lshrrev_b32_e32 v47, 8, v25
	v_and_b32_e32 v28, 0x400000, v19
	v_cndmask_b32_e32 v30, 22, v30, vcc_lo
	v_cmp_ne_u32_e32 vcc_lo, 21, v26
	v_lshlrev_b16 v29, 8, v29
	v_bfe_u32 v49, v19, 22, 1
	v_cndmask_b32_e32 v41, 22, v41, vcc_lo
	v_cmp_ne_u32_e32 vcc_lo, 23, v26
	v_or_b32_sdwa v29, v30, v29 dst_sel:WORD_1 dst_unused:UNUSED_PAD src0_sel:BYTE_0 src1_sel:DWORD
	v_lshlrev_b16 v41, 8, v41
	v_cndmask_b32_e32 v42, 22, v42, vcc_lo
	v_cmp_ne_u32_e32 vcc_lo, 20, v26
	v_or_b32_sdwa v27, v27, v29 dst_sel:DWORD dst_unused:UNUSED_PAD src0_sel:WORD_0 src1_sel:DWORD
	v_lshlrev_b16 v42, 8, v42
	v_cndmask_b32_e32 v43, 22, v20, vcc_lo
	v_cmp_ne_u32_e32 vcc_lo, 22, v26
	v_or_b32_sdwa v30, v43, v41 dst_sel:DWORD dst_unused:UNUSED_PAD src0_sel:BYTE_0 src1_sel:DWORD
	v_cndmask_b32_e32 v44, 22, v44, vcc_lo
	v_cmp_ne_u32_e32 vcc_lo, 17, v26
	v_lshrrev_b32_e32 v43, 24, v23
	v_or_b32_sdwa v42, v44, v42 dst_sel:WORD_1 dst_unused:UNUSED_PAD src0_sel:BYTE_0 src1_sel:DWORD
	v_cndmask_b32_e32 v41, 22, v45, vcc_lo
	v_cmp_ne_u32_e32 vcc_lo, 16, v26
	v_or_b32_sdwa v29, v30, v42 dst_sel:DWORD dst_unused:UNUSED_PAD src0_sel:WORD_0 src1_sel:DWORD
	v_lshlrev_b16 v41, 8, v41
	v_cndmask_b32_e32 v44, 22, v23, vcc_lo
	v_cmp_ne_u32_e32 vcc_lo, 19, v26
	v_or_b32_sdwa v30, v44, v41 dst_sel:DWORD dst_unused:UNUSED_PAD src0_sel:BYTE_0 src1_sel:DWORD
	v_cndmask_b32_e32 v43, 22, v43, vcc_lo
	v_lshrrev_b32_e32 v41, 16, v23
	v_cmp_ne_u32_e32 vcc_lo, 18, v26
	v_lshrrev_b32_e32 v44, 24, v21
	v_lshlrev_b16 v42, 8, v43
	v_lshrrev_b32_e32 v43, 8, v21
	v_cndmask_b32_e32 v41, 22, v41, vcc_lo
	v_cmp_ne_u32_e32 vcc_lo, 13, v26
	v_or_b32_sdwa v41, v41, v42 dst_sel:WORD_1 dst_unused:UNUSED_PAD src0_sel:BYTE_0 src1_sel:DWORD
	v_cndmask_b32_e32 v43, 22, v43, vcc_lo
	v_cmp_ne_u32_e32 vcc_lo, 15, v26
	v_or_b32_sdwa v30, v30, v41 dst_sel:DWORD dst_unused:UNUSED_PAD src0_sel:WORD_0 src1_sel:DWORD
	v_lshlrev_b16 v43, 8, v43
	v_cndmask_b32_e32 v44, 22, v44, vcc_lo
	v_cmp_ne_u32_e32 vcc_lo, 12, v26
	v_lshlrev_b16 v44, 8, v44
	v_cndmask_b32_e32 v45, 22, v21, vcc_lo
	v_cmp_ne_u32_e32 vcc_lo, 14, v26
	v_or_b32_sdwa v42, v45, v43 dst_sel:DWORD dst_unused:UNUSED_PAD src0_sel:BYTE_0 src1_sel:DWORD
	v_cndmask_b32_e32 v46, 22, v46, vcc_lo
	v_cmp_ne_u32_e32 vcc_lo, 9, v26
	v_lshrrev_b32_e32 v45, 24, v25
	v_or_b32_sdwa v44, v46, v44 dst_sel:WORD_1 dst_unused:UNUSED_PAD src0_sel:BYTE_0 src1_sel:DWORD
	v_cndmask_b32_e32 v43, 22, v47, vcc_lo
	v_cmp_ne_u32_e32 vcc_lo, 8, v26
	v_lshrrev_b32_e32 v47, 16, v24
	v_or_b32_sdwa v41, v42, v44 dst_sel:DWORD dst_unused:UNUSED_PAD src0_sel:WORD_0 src1_sel:DWORD
	v_lshlrev_b16 v43, 8, v43
	v_cndmask_b32_e32 v46, 22, v25, vcc_lo
	v_cmp_ne_u32_e32 vcc_lo, 11, v26
	v_or_b32_sdwa v42, v46, v43 dst_sel:DWORD dst_unused:UNUSED_PAD src0_sel:BYTE_0 src1_sel:DWORD
	v_cndmask_b32_e32 v45, 22, v45, vcc_lo
	v_lshrrev_b32_e32 v43, 16, v25
	v_cmp_ne_u32_e32 vcc_lo, 10, v26
	v_lshrrev_b32_e32 v46, 24, v24
	v_lshlrev_b16 v44, 8, v45
	v_lshrrev_b32_e32 v45, 8, v24
	v_cndmask_b32_e32 v43, 22, v43, vcc_lo
	v_cmp_ne_u32_e32 vcc_lo, 5, v26
	v_cndmask_b32_e32 v45, 22, v45, vcc_lo
	v_cmp_ne_u32_e32 vcc_lo, 7, v26
	v_lshlrev_b16 v45, 8, v45
	v_cndmask_b32_e32 v46, 22, v46, vcc_lo
	v_cmp_ne_u32_e32 vcc_lo, 4, v26
	v_lshlrev_b16 v46, 8, v46
	v_cndmask_b32_e32 v48, 22, v24, vcc_lo
	v_cmp_ne_u32_e32 vcc_lo, 6, v26
	v_cndmask_b32_e32 v47, 22, v47, vcc_lo
	v_cmp_eq_u32_e32 vcc_lo, 0, v28
	v_or_b32_sdwa v28, v48, v45 dst_sel:DWORD dst_unused:UNUSED_PAD src0_sel:BYTE_0 src1_sel:DWORD
	v_cndmask_b32_e32 v22, v27, v22, vcc_lo
	v_or_b32_sdwa v27, v43, v44 dst_sel:WORD_1 dst_unused:UNUSED_PAD src0_sel:BYTE_0 src1_sel:DWORD
	v_add_nc_u32_e32 v44, v26, v49
	v_or_b32_sdwa v43, v47, v46 dst_sel:WORD_1 dst_unused:UNUSED_PAD src0_sel:BYTE_0 src1_sel:DWORD
	v_lshrrev_b32_e32 v26, 8, v22
	v_or_b32_sdwa v27, v42, v27 dst_sel:DWORD dst_unused:UNUSED_PAD src0_sel:WORD_0 src1_sel:DWORD
	v_cmp_ne_u32_e64 s6, 1, v44
	v_lshrrev_b32_e32 v42, 24, v22
	v_or_b32_sdwa v28, v28, v43 dst_sel:DWORD dst_unused:UNUSED_PAD src0_sel:WORD_0 src1_sel:DWORD
	v_lshrrev_b32_e32 v43, 16, v22
	v_cndmask_b32_e32 v25, v27, v25, vcc_lo
	v_cndmask_b32_e64 v26, 23, v26, s6
	v_cmp_ne_u32_e64 s6, 3, v44
	v_cndmask_b32_e32 v27, v29, v20, vcc_lo
	v_cndmask_b32_e32 v24, v28, v24, vcc_lo
	;; [unrolled: 1-line block ×3, first 2 shown]
	v_lshlrev_b16 v26, 8, v26
	v_cndmask_b32_e64 v42, 23, v42, s6
	v_cmp_ne_u32_e64 s6, 0, v44
	v_and_b32_e32 v21, 0x800000, v19
	v_cndmask_b32_e32 v29, v30, v23, vcc_lo
	v_lshrrev_b32_e32 v23, 8, v27
	v_lshlrev_b16 v42, 8, v42
	v_cndmask_b32_e64 v45, 23, v22, s6
	v_cmp_ne_u32_e64 s6, 2, v44
	v_cmp_eq_u32_e32 vcc_lo, 0, v21
	v_lshrrev_b32_e32 v30, 8, v29
	v_lshrrev_b32_e32 v41, 16, v27
	v_or_b32_sdwa v20, v45, v26 dst_sel:DWORD dst_unused:UNUSED_PAD src0_sel:BYTE_0 src1_sel:DWORD
	v_cndmask_b32_e64 v43, 23, v43, s6
	v_cmp_ne_u32_e64 s6, 21, v44
	v_lshrrev_b32_e32 v46, 24, v25
	v_lshrrev_b32_e32 v49, 16, v25
	v_lshrrev_b32_e32 v50, 8, v24
	v_or_b32_sdwa v26, v43, v42 dst_sel:WORD_1 dst_unused:UNUSED_PAD src0_sel:BYTE_0 src1_sel:DWORD
	v_cndmask_b32_e64 v21, 23, v23, s6
	v_cmp_ne_u32_e64 s6, 23, v44
	v_lshrrev_b32_e32 v42, 24, v29
	v_lshrrev_b32_e32 v51, 24, v24
	v_or_b32_sdwa v20, v20, v26 dst_sel:DWORD dst_unused:UNUSED_PAD src0_sel:WORD_0 src1_sel:DWORD
	v_lshrrev_b32_e32 v26, 24, v27
	v_lshlrev_b16 v21, 8, v21
	v_lshrrev_b32_e32 v52, 16, v24
	v_lshrrev_b32_e32 v47, 16, v28
	v_cndmask_b32_e32 v20, v20, v22, vcc_lo
	v_cndmask_b32_e64 v23, 23, v26, s6
	v_cmp_ne_u32_e64 s6, 20, v44
	v_bfe_u32 v19, v19, 23, 1
	v_lshrrev_b32_e32 v80, 16, v20
	v_lshlrev_b16 v23, 8, v23
	v_cndmask_b32_e64 v26, 23, v27, s6
	v_cmp_ne_u32_e64 s6, 17, v44
	v_lshrrev_b32_e32 v76, 8, v20
	v_or_b32_sdwa v21, v26, v21 dst_sel:DWORD dst_unused:UNUSED_PAD src0_sel:BYTE_0 src1_sel:DWORD
	v_cndmask_b32_e64 v30, 23, v30, s6
	v_cmp_ne_u32_e64 s6, 22, v44
	v_lshrrev_b32_e32 v26, 8, v28
	v_lshlrev_b16 v30, 8, v30
	v_cndmask_b32_e64 v41, 23, v41, s6
	v_cmp_ne_u32_e64 s6, 16, v44
	v_or_b32_sdwa v23, v41, v23 dst_sel:WORD_1 dst_unused:UNUSED_PAD src0_sel:BYTE_0 src1_sel:DWORD
	v_cndmask_b32_e64 v43, 23, v29, s6
	v_cmp_ne_u32_e64 s6, 19, v44
	v_or_b32_sdwa v30, v43, v30 dst_sel:DWORD dst_unused:UNUSED_PAD src0_sel:BYTE_0 src1_sel:DWORD
	v_cndmask_b32_e64 v42, 23, v42, s6
	v_cmp_ne_u32_e64 s6, 13, v44
	v_lshrrev_b32_e32 v43, 24, v28
	v_lshlrev_b16 v41, 8, v42
	v_cndmask_b32_e64 v26, 23, v26, s6
	v_cmp_ne_u32_e64 s6, 12, v44
	v_lshrrev_b32_e32 v42, 16, v29
	v_lshlrev_b16 v26, 8, v26
	v_cndmask_b32_e64 v45, 23, v28, s6
	v_cmp_ne_u32_e64 s6, 15, v44
	v_or_b32_sdwa v26, v45, v26 dst_sel:DWORD dst_unused:UNUSED_PAD src0_sel:BYTE_0 src1_sel:DWORD
	v_cndmask_b32_e64 v43, 23, v43, s6
	v_cmp_ne_u32_e64 s6, 18, v44
	v_lshrrev_b32_e32 v45, 8, v25
	v_lshlrev_b16 v43, 8, v43
	v_cndmask_b32_e64 v42, 23, v42, s6
	v_cmp_ne_u32_e64 s6, 9, v44
	v_or_b32_sdwa v41, v42, v41 dst_sel:WORD_1 dst_unused:UNUSED_PAD src0_sel:BYTE_0 src1_sel:DWORD
	v_cndmask_b32_e64 v45, 23, v45, s6
	v_cmp_ne_u32_e64 s6, 11, v44
	v_or_b32_sdwa v42, v21, v23 dst_sel:DWORD dst_unused:UNUSED_PAD src0_sel:WORD_0 src1_sel:DWORD
	v_or_b32_sdwa v30, v30, v41 dst_sel:DWORD dst_unused:UNUSED_PAD src0_sel:WORD_0 src1_sel:DWORD
	v_lshlrev_b16 v45, 8, v45
	v_cndmask_b32_e64 v46, 23, v46, s6
	v_cmp_ne_u32_e64 s6, 8, v44
	v_lshlrev_b16 v46, 8, v46
	v_cndmask_b32_e64 v48, 23, v25, s6
	v_cmp_ne_u32_e64 s6, 10, v44
	v_or_b32_sdwa v45, v48, v45 dst_sel:DWORD dst_unused:UNUSED_PAD src0_sel:BYTE_0 src1_sel:DWORD
	v_cndmask_b32_e64 v49, 23, v49, s6
	v_cmp_ne_u32_e64 s6, 5, v44
	v_or_b32_sdwa v46, v49, v46 dst_sel:WORD_1 dst_unused:UNUSED_PAD src0_sel:BYTE_0 src1_sel:DWORD
	v_cndmask_b32_e64 v50, 23, v50, s6
	v_cmp_ne_u32_e64 s6, 7, v44
	v_or_b32_sdwa v23, v45, v46 dst_sel:DWORD dst_unused:UNUSED_PAD src0_sel:WORD_0 src1_sel:DWORD
	v_lshlrev_b16 v50, 8, v50
	v_cndmask_b32_e64 v51, 23, v51, s6
	v_cmp_ne_u32_e64 s6, 4, v44
	v_cndmask_b32_e32 v22, v23, v25, vcc_lo
	v_lshlrev_b16 v51, 8, v51
	v_cndmask_b32_e64 v53, 23, v24, s6
	v_cmp_ne_u32_e64 s6, 6, v44
	v_lshrrev_b32_e32 v72, 16, v22
	v_lshrrev_b32_e32 v81, 8, v22
	v_or_b32_sdwa v48, v53, v50 dst_sel:DWORD dst_unused:UNUSED_PAD src0_sel:BYTE_0 src1_sel:DWORD
	v_cndmask_b32_e64 v52, 23, v52, s6
	v_cmp_ne_u32_e64 s6, 14, v44
	v_or_b32_sdwa v50, v52, v51 dst_sel:WORD_1 dst_unused:UNUSED_PAD src0_sel:BYTE_0 src1_sel:DWORD
	v_cndmask_b32_e64 v47, 23, v47, s6
	v_or_b32_sdwa v21, v48, v50 dst_sel:DWORD dst_unused:UNUSED_PAD src0_sel:WORD_0 src1_sel:DWORD
	v_or_b32_sdwa v43, v47, v43 dst_sel:WORD_1 dst_unused:UNUSED_PAD src0_sel:BYTE_0 src1_sel:DWORD
	v_cndmask_b32_e32 v21, v21, v24, vcc_lo
	v_or_b32_sdwa v26, v26, v43 dst_sel:DWORD dst_unused:UNUSED_PAD src0_sel:WORD_0 src1_sel:DWORD
	v_lshrrev_b32_e32 v78, 24, v21
	v_cndmask_b32_e32 v23, v26, v28, vcc_lo
	v_cndmask_b32_e32 v28, v30, v29, vcc_lo
	;; [unrolled: 1-line block ×3, first 2 shown]
	v_lshrrev_b64 v[26:27], 24, v[20:21]
	v_lshrrev_b32_e32 v79, 16, v21
	v_lshrrev_b64 v[24:25], 24, v[22:23]
	v_lshrrev_b32_e32 v77, 8, v21
	;; [unrolled: 2-line block ×3, first 2 shown]
	v_lshrrev_b32_e32 v75, 16, v23
	v_lshrrev_b32_e32 v83, 8, v23
	;; [unrolled: 1-line block ×3, first 2 shown]
	v_add_nc_u32_e32 v42, v44, v19
	v_lshrrev_b32_e32 v85, 8, v28
	v_lshrrev_b32_e32 v84, 24, v29
	;; [unrolled: 1-line block ×4, first 2 shown]
	v_cmpx_ne_u32_e32 0, v42
	s_cbranch_execz .LBB0_313
; %bb.284:
	v_add_f64 v[46:47], v[35:36], v[35:36]
	v_mov_b32_e32 v43, 0
	v_mov_b32_e32 v19, 3
	s_mov_b32 s8, 0x55555555
	s_mov_b64 s[6:7], 0
	s_mov_b32 s9, 0x3fd55555
	v_mul_f64 v[44:45], v[46:47], 0.5
	v_fma_f64 v[50:51], v[46:47], 0.5, 0
	v_fma_f64 v[48:49], v[44:45], 0.5, v[9:10]
	;; [unrolled: 1-line block ×3, first 2 shown]
	v_fma_f64 v[52:53], v[44:45], v[48:49], 0
	v_fma_f64 v[46:47], v[46:47], 0.5, v[50:51]
	v_fma_f64 v[52:53], v[44:45], v[48:49], v[52:53]
	v_fma_f64 v[48:49], v[44:45], v[48:49], v[52:53]
	s_branch .LBB0_287
.LBB0_285:                              ;   in Loop: Header=BB0_287 Depth=1
	s_or_b32 exec_lo, exec_lo, s13
	v_mov_b32_e32 v66, v25
	v_mov_b32_e32 v25, v30
.LBB0_286:                              ;   in Loop: Header=BB0_287 Depth=1
	s_or_b32 exec_lo, exec_lo, s12
	v_lshl_add_u32 v25, v25, 3, 0xd0
	v_lshl_add_u32 v27, v66, 3, 0xd0
	s_waitcnt vmcnt(12)
	v_add_f64 v[50:51], v[50:51], v[56:57]
	s_waitcnt vmcnt(4)
	v_add_f64 v[56:57], v[58:59], v[64:65]
	s_add_u32 s6, s6, 1
	s_clause 0x7
	buffer_load_dword v68, v25, s[0:3], 0 offen offset:68
	buffer_load_dword v67, v25, s[0:3], 0 offen offset:64
	;; [unrolled: 1-line block ×5, first 2 shown]
	buffer_load_dword v69, v25, s[0:3], 0 offen
	buffer_load_dword v89, v27, s[0:3], 0 offen
	buffer_load_dword v90, v27, s[0:3], 0 offen offset:4
	s_addc_u32 s7, s7, 0
	v_cmp_eq_u64_e32 vcc_lo, s[6:7], v[42:43]
	s_or_b32 s11, vcc_lo, s11
	v_add_f64 v[50:51], v[50:51], v[54:55]
	s_waitcnt vmcnt(10)
	v_add_f64 v[54:55], v[56:57], v[62:63]
	v_add_f64 v[50:51], v[50:51], v[52:53]
	s_waitcnt vmcnt(8)
	v_add_f64 v[52:53], v[54:55], v[60:61]
	v_fma_f64 v[50:51], 0x3fd00000, v[50:51], -v[1:2]
	v_fma_f64 v[52:53], 0x3fd00000, v[52:53], -v[5:6]
	v_mul_f64 v[50:51], v[33:34], v[50:51]
	s_waitcnt vmcnt(3)
	v_add_f64 v[56:57], v[87:88], -v[5:6]
	s_waitcnt vmcnt(2)
	v_add_f64 v[58:59], v[69:70], -v[1:2]
	v_add_f64 v[54:55], v[67:68], -v[5:6]
	s_waitcnt vmcnt(0)
	v_add_f64 v[60:61], v[89:90], -v[1:2]
	v_mul_f64 v[62:63], v[7:8], v[56:57]
	v_fma_f64 v[64:65], -v[33:34], v[58:59], v[50:51]
	v_mul_f64 v[54:55], v[7:8], v[54:55]
	v_mul_f64 v[68:69], v[33:34], v[60:61]
	v_fma_f64 v[70:71], v[33:34], v[60:61], v[50:51]
	v_fma_f64 v[60:61], v[33:34], v[60:61], -v[50:51]
	v_fma_f64 v[89:90], v[33:34], v[58:59], v[50:51]
	v_fma_f64 v[87:88], v[7:8], v[52:53], v[62:63]
	;; [unrolled: 1-line block ×5, first 2 shown]
	v_fma_f64 v[91:92], v[33:34], v[58:59], -v[68:69]
	v_mul_f64 v[64:65], v[64:65], v[66:67]
	v_fma_f64 v[66:67], v[39:40], v[66:67], v[5:6]
	v_fma_f64 v[70:71], v[44:45], v[70:71], 0
	;; [unrolled: 1-line block ×6, first 2 shown]
	v_mul_f64 v[58:59], v[33:34], v[58:59]
	v_fma_f64 v[60:61], v[91:92], v[56:57], v[60:61]
	v_fma_f64 v[64:65], v[44:45], v[64:65], 0
	;; [unrolled: 1-line block ×5, first 2 shown]
	ds_write2_b64 v0, v[68:69], v[58:59] offset1:2
	ds_write2_b64 v0, v[62:63], v[54:55] offset0:10 offset1:12
	ds_write2_b64 v0, v[35:36], v[35:36] offset0:20 offset1:22
	v_mul_f64 v[60:61], v[60:61], 0.5
	v_fma_f64 v[64:65], v[44:45], v[66:67], v[64:65]
	v_fma_f64 v[66:67], v[44:45], v[89:90], v[70:71]
	v_mul_f64 v[60:61], v[60:61], s[8:9]
	v_fma_f64 v[56:57], v[44:45], v[56:57], v[64:65]
	v_fma_f64 v[64:65], v[46:47], v[60:61], 0
	;; [unrolled: 1-line block ×9, first 2 shown]
	s_andn2_b32 exec_lo, exec_lo, s11
	s_cbranch_execz .LBB0_312
.LBB0_287:                              ; =>This Inner Loop Header: Depth=1
	s_cmp_eq_u32 s6, 1
	s_mov_b32 s12, exec_lo
	s_cselect_b32 vcc_lo, -1, 0
	s_cmp_eq_u32 s6, 2
	v_cndmask_b32_e32 v25, v20, v76, vcc_lo
	s_cselect_b32 vcc_lo, -1, 0
	s_cmp_eq_u32 s6, 3
                                        ; implicit-def: $vgpr67
                                        ; implicit-def: $vgpr53
                                        ; implicit-def: $vgpr27
                                        ; implicit-def: $vgpr52
                                        ; implicit-def: $vgpr30
                                        ; implicit-def: $vgpr54
                                        ; implicit-def: $vgpr51
	v_cndmask_b32_e32 v25, v25, v80, vcc_lo
	s_cselect_b32 vcc_lo, -1, 0
	s_cmp_eq_u32 s6, 4
	v_cndmask_b32_e32 v25, v25, v26, vcc_lo
	s_cselect_b32 vcc_lo, -1, 0
	s_cmp_eq_u32 s6, 5
	;; [unrolled: 3-line block ×20, first 2 shown]
	v_cndmask_b32_e32 v25, v25, v74, vcc_lo
	s_cselect_b32 vcc_lo, -1, 0
	v_cndmask_b32_e32 v66, v25, v84, vcc_lo
	v_bfe_u32 v25, v66, 2, 6
	v_cmpx_lt_i32_e32 1, v25
	s_xor_b32 s12, exec_lo, s12
	s_cbranch_execz .LBB0_299
; %bb.288:                              ;   in Loop: Header=BB0_287 Depth=1
	s_mov_b32 s13, exec_lo
                                        ; implicit-def: $vgpr67
                                        ; implicit-def: $vgpr53
                                        ; implicit-def: $vgpr27
                                        ; implicit-def: $vgpr52
                                        ; implicit-def: $vgpr30
                                        ; implicit-def: $vgpr54
                                        ; implicit-def: $vgpr51
	v_cmpx_lt_i32_e32 2, v25
	s_xor_b32 s13, exec_lo, s13
	s_cbranch_execz .LBB0_296
; %bb.289:                              ;   in Loop: Header=BB0_287 Depth=1
	s_mov_b32 s14, exec_lo
                                        ; implicit-def: $vgpr67
                                        ; implicit-def: $vgpr53
                                        ; implicit-def: $vgpr27
                                        ; implicit-def: $vgpr52
                                        ; implicit-def: $vgpr30
                                        ; implicit-def: $vgpr54
                                        ; implicit-def: $vgpr51
	v_cmpx_lt_i32_e32 3, v25
	s_xor_b32 s14, exec_lo, s14
	s_cbranch_execz .LBB0_293
; %bb.290:                              ;   in Loop: Header=BB0_287 Depth=1
	s_mov_b32 s15, exec_lo
	v_cmpx_ne_u32_e32 4, v25
	s_xor_b32 s15, exec_lo, s15
	s_or_saveexec_b32 s15, s15
	v_mov_b32_e32 v25, 4
	v_mov_b32_e32 v30, 6
	;; [unrolled: 1-line block ×8, first 2 shown]
	s_xor_b32 exec_lo, exec_lo, s15
	s_cbranch_execz .LBB0_292
; %bb.291:                              ;   in Loop: Header=BB0_287 Depth=1
	v_mov_b32_e32 v25, 0
	v_mov_b32_e32 v30, 1
	;; [unrolled: 1-line block ×8, first 2 shown]
.LBB0_292:                              ;   in Loop: Header=BB0_287 Depth=1
	s_or_b32 exec_lo, exec_lo, s15
.LBB0_293:                              ;   in Loop: Header=BB0_287 Depth=1
	s_andn2_saveexec_b32 s14, s14
	s_cbranch_execz .LBB0_295
; %bb.294:                              ;   in Loop: Header=BB0_287 Depth=1
	v_mov_b32_e32 v25, 2
	v_mov_b32_e32 v30, 3
	;; [unrolled: 1-line block ×8, first 2 shown]
.LBB0_295:                              ;   in Loop: Header=BB0_287 Depth=1
	s_or_b32 exec_lo, exec_lo, s14
.LBB0_296:                              ;   in Loop: Header=BB0_287 Depth=1
	s_andn2_saveexec_b32 s13, s13
	s_cbranch_execz .LBB0_298
; %bb.297:                              ;   in Loop: Header=BB0_287 Depth=1
	v_mov_b32_e32 v25, 0
	v_mov_b32_e32 v30, 4
	v_mov_b32_e32 v27, 5
	v_mov_b32_e32 v67, 1
	v_mov_b32_e32 v51, 0xd0
	v_mov_b32_e32 v53, s22
	v_mov_b32_e32 v52, s20
	v_mov_b32_e32 v54, s25
.LBB0_298:                              ;   in Loop: Header=BB0_287 Depth=1
	s_or_b32 exec_lo, exec_lo, s13
.LBB0_299:                              ;   in Loop: Header=BB0_287 Depth=1
	s_andn2_saveexec_b32 s12, s12
	s_cbranch_execz .LBB0_303
; %bb.300:                              ;   in Loop: Header=BB0_287 Depth=1
	v_mov_b32_e32 v30, 2
	v_mov_b32_e32 v27, 6
	;; [unrolled: 1-line block ×7, first 2 shown]
	s_mov_b32 s13, exec_lo
	v_cmpx_lt_i32_e32 0, v25
	s_cbranch_execz .LBB0_302
; %bb.301:                              ;   in Loop: Header=BB0_287 Depth=1
	v_mov_b32_e32 v25, 1
	v_mov_b32_e32 v30, 5
	;; [unrolled: 1-line block ×8, first 2 shown]
.LBB0_302:                              ;   in Loop: Header=BB0_287 Depth=1
	s_or_b32 exec_lo, exec_lo, s13
.LBB0_303:                              ;   in Loop: Header=BB0_287 Depth=1
	s_or_b32 exec_lo, exec_lo, s12
	v_lshl_add_u32 v59, v25, 3, 0xd0
	v_lshl_add_u32 v60, v30, 3, 0xd0
	;; [unrolled: 1-line block ×3, first 2 shown]
	s_clause 0x7
	buffer_load_dword v50, v51, s[0:3], 0 offen
	buffer_load_dword v51, v51, s[0:3], 0 offen offset:4
	buffer_load_dword v56, v54, s[0:3], 0 offen
	buffer_load_dword v57, v54, s[0:3], 0 offen offset:4
	;; [unrolled: 2-line block ×4, first 2 shown]
	v_lshl_add_u32 v68, v67, 3, 0xd0
	s_clause 0x7
	buffer_load_dword v58, v59, s[0:3], 0 offen offset:64
	buffer_load_dword v59, v59, s[0:3], 0 offen offset:68
	buffer_load_dword v64, v60, s[0:3], 0 offen offset:64
	buffer_load_dword v65, v60, s[0:3], 0 offen offset:68
	buffer_load_dword v62, v61, s[0:3], 0 offen offset:64
	buffer_load_dword v63, v61, s[0:3], 0 offen offset:68
	buffer_load_dword v60, v68, s[0:3], 0 offen offset:64
	buffer_load_dword v61, v68, s[0:3], 0 offen offset:68
	v_and_b32_sdwa v68, v66, v19 dst_sel:DWORD dst_unused:UNUSED_PAD src0_sel:BYTE_0 src1_sel:DWORD
	s_mov_b32 s12, exec_lo
                                        ; implicit-def: $vgpr66
	v_cmpx_lt_i32_e32 1, v68
	s_xor_b32 s12, exec_lo, s12
	s_cbranch_execz .LBB0_309
; %bb.304:                              ;   in Loop: Header=BB0_287 Depth=1
	s_mov_b32 s13, exec_lo
	v_cmpx_lt_i32_e32 2, v68
	s_xor_b32 s13, exec_lo, s13
; %bb.305:                              ;   in Loop: Header=BB0_287 Depth=1
                                        ; implicit-def: $vgpr27
; %bb.306:                              ;   in Loop: Header=BB0_287 Depth=1
	s_or_saveexec_b32 s13, s13
	v_mov_b32_e32 v66, v67
	s_xor_b32 exec_lo, exec_lo, s13
; %bb.307:                              ;   in Loop: Header=BB0_287 Depth=1
	v_mov_b32_e32 v66, v27
	v_mov_b32_e32 v25, v67
; %bb.308:                              ;   in Loop: Header=BB0_287 Depth=1
	s_or_b32 exec_lo, exec_lo, s13
                                        ; implicit-def: $vgpr30
                                        ; implicit-def: $vgpr27
                                        ; implicit-def: $vgpr68
.LBB0_309:                              ;   in Loop: Header=BB0_287 Depth=1
	s_andn2_saveexec_b32 s12, s12
	s_cbranch_execz .LBB0_286
; %bb.310:                              ;   in Loop: Header=BB0_287 Depth=1
	s_mov_b32 s13, exec_lo
	v_cmpx_eq_u32_e32 1, v68
	s_cbranch_execz .LBB0_285
; %bb.311:                              ;   in Loop: Header=BB0_287 Depth=1
	v_mov_b32_e32 v25, v30
	v_mov_b32_e32 v30, v27
	s_branch .LBB0_285
.LBB0_312:
	s_or_b32 exec_lo, exec_lo, s11
	v_mul_f64 v[42:43], v[7:8], v[52:53]
	ds_write2_b64 v0, v[50:51], v[42:43] offset0:1 offset1:11
	ds_write_b64 v0, v[35:36] offset:168
.LBB0_313:
	s_or_b32 exec_lo, exec_lo, s10
	buffer_load_dword v93, off, s[0:3], 0
	s_mov_b32 s11, 0
	s_mov_b32 s10, exec_lo
	s_waitcnt vmcnt(0)
	v_and_b32_e32 v92, 1, v93
	v_bfe_u32 v19, v93, 1, 1
	v_bfe_u32 v25, v93, 2, 1
	v_add_nc_u32_e32 v91, v19, v92
	v_bfe_u32 v19, v93, 3, 1
	v_add_nc_u32_e32 v90, v91, v25
	;; [unrolled: 2-line block ×22, first 2 shown]
	v_add_nc_u32_e32 v19, v25, v19
	v_cmpx_ne_u32_e32 0, v19
	s_cbranch_execz .LBB0_343
; %bb.314:
	v_perm_b32 v26, v80, v26, 0xc0c0004
	v_perm_b32 v20, v20, v76, 0xc0c0004
	v_lshlrev_b16 v76, 8, v76
	v_cmp_eq_u32_e32 vcc_lo, 0, v92
	v_lshlrev_b16 v85, 8, v85
	v_lshlrev_b32_e32 v26, 16, v26
	v_lshlrev_b16 v80, 8, v81
	v_perm_b32 v81, v75, v82, 0xc0c0004
	v_perm_b32 v41, v73, v41, 0xc0c0004
	v_or_b32_sdwa v85, v28, v85 dst_sel:DWORD dst_unused:UNUSED_PAD src0_sel:BYTE_0 src1_sel:DWORD
	v_or_b32_e32 v20, v20, v26
	v_or_b32_sdwa v26, v76, v26 dst_sel:DWORD dst_unused:UNUSED_PAD src0_sel:WORD_0 src1_sel:DWORD
	v_perm_b32 v86, v29, v86, 0xc0c0004
	v_cmp_ne_u32_e64 s6, 19, v92
	v_and_b32_e32 v97, 0xffff, v85
	v_perm_b32 v23, v23, v83, 0xc0c0004
	v_cndmask_b32_e32 v20, v26, v20, vcc_lo
	v_lshrrev_b32_e32 v98, 8, v86
	v_and_b32_e32 v73, 0xff, v73
	v_lshl_or_b32 v26, v41, 16, v97
	v_lshrrev_b32_e32 v41, 8, v41
	v_lshrrev_b32_e32 v82, 8, v20
	;; [unrolled: 1-line block ×3, first 2 shown]
	v_cndmask_b32_e64 v100, v20, 1, vcc_lo
	v_lshrrev_b32_e32 v101, 16, v20
	v_cndmask_b32_e64 v41, 1, v41, s6
	v_cndmask_b32_e32 v82, 1, v82, vcc_lo
	v_cmp_ne_u32_e32 vcc_lo, 3, v92
	v_cmp_ne_u32_e64 s6, 18, v92
	v_perm_b32 v84, v74, v84, 0xc0c0004
	v_lshrrev_b32_e32 v83, 8, v23
	v_lshlrev_b16 v82, 8, v82
	v_cndmask_b32_e32 v99, 1, v99, vcc_lo
	v_cmp_ne_u32_e32 vcc_lo, 2, v92
	v_cndmask_b32_e64 v73, 1, v73, s6
	v_cmp_ne_u32_e64 s6, 13, v92
	v_or_b32_sdwa v82, v100, v82 dst_sel:DWORD dst_unused:UNUSED_PAD src0_sel:BYTE_0 src1_sel:DWORD
	v_and_b32_e32 v94, 2, v93
	v_cndmask_b32_e32 v100, 1, v101, vcc_lo
	v_cmp_ne_u32_e32 vcc_lo, 21, v92
	v_and_b32_e32 v95, 4, v93
	v_and_b32_e32 v96, 8, v93
	;; [unrolled: 1-line block ×4, first 2 shown]
	v_cndmask_b32_e32 v98, 1, v98, vcc_lo
	v_cmp_ne_u32_e32 vcc_lo, 20, v92
	v_and_b32_e32 v70, 64, v93
	v_and_b32_e32 v68, 0x80, v93
	;; [unrolled: 1-line block ×18, first 2 shown]
	v_lshl_or_b32 v93, v84, 16, v86
	v_or_b32_sdwa v22, v22, v80 dst_sel:DWORD dst_unused:UNUSED_PAD src0_sel:BYTE_0 src1_sel:DWORD
	v_lshrrev_b32_e32 v84, 8, v84
	v_cndmask_b32_e32 v86, 1, v86, vcc_lo
	v_cmp_ne_u32_e32 vcc_lo, 23, v92
	v_cndmask_b32_e64 v83, 1, v83, s6
	v_cmp_ne_u32_e64 s6, 12, v92
	v_perm_b32 v24, v72, v24, 0xc0c0004
	v_perm_b32 v78, v79, v78, 0xc0c0004
	v_and_b32_e32 v76, 0xffff, v22
	v_lshl_or_b32 v79, v81, 16, v23
	v_and_b32_e32 v75, 0xff, v75
	v_and_b32_e32 v74, 0xff, v74
	v_cndmask_b32_e32 v84, 1, v84, vcc_lo
	v_cmp_ne_u32_e32 vcc_lo, 22, v92
	v_cndmask_b32_e64 v23, 1, v23, s6
	v_cmp_ne_u32_e64 s6, 14, v92
	v_lshl_or_b32 v80, v24, 16, v76
	v_lshrrev_b32_e32 v97, 8, v97
	v_cndmask_b32_e32 v74, 1, v74, vcc_lo
	v_cmp_ne_u32_e32 vcc_lo, 17, v92
	v_lshrrev_b32_e32 v76, 8, v76
	v_cndmask_b32_e64 v75, 1, v75, s6
	v_cmp_ne_u32_e64 s6, 9, v92
	v_perm_b32 v21, v21, v77, 0xc0c0004
	v_lshlrev_b32_e32 v77, 16, v78
	v_lshrrev_b32_e32 v81, 8, v81
	v_lshlrev_b16 v84, 8, v84
	v_cndmask_b32_e32 v97, 1, v97, vcc_lo
	v_cmp_ne_u32_e32 vcc_lo, 16, v92
	v_cndmask_b32_e64 v76, 1, v76, s6
	v_cmp_ne_u32_e64 s6, 15, v92
	v_or_b32_e32 v77, v21, v77
	v_or_b32_sdwa v74, v74, v84 dst_sel:WORD_1 dst_unused:UNUSED_PAD src0_sel:DWORD src1_sel:DWORD
	v_cndmask_b32_e32 v84, 1, v85, vcc_lo
	v_lshlrev_b16 v85, 8, v97
	v_cndmask_b32_e64 v81, 1, v81, s6
	v_cmp_ne_u32_e64 s6, 8, v92
	v_and_b32_e32 v72, 0xff, v72
	v_lshlrev_b16 v98, 8, v98
	v_or_b32_sdwa v84, v84, v85 dst_sel:DWORD dst_unused:UNUSED_PAD src0_sel:BYTE_0 src1_sel:DWORD
	v_lshrrev_b32_e32 v85, 8, v77
	v_cndmask_b32_e64 v22, 1, v22, s6
	v_cmp_ne_u32_e64 s6, 5, v92
	v_lshlrev_b16 v99, 8, v99
	v_or_b32_sdwa v86, v86, v98 dst_sel:DWORD dst_unused:UNUSED_PAD src0_sel:BYTE_0 src1_sel:DWORD
	v_lshrrev_b32_e32 v24, 8, v24
	v_cmp_eq_u32_e32 vcc_lo, 0, v94
	v_cndmask_b32_e64 v85, 1, v85, s6
	v_cmp_ne_u32_e64 s6, 10, v92
	v_or_b32_sdwa v99, v100, v99 dst_sel:WORD_1 dst_unused:UNUSED_PAD src0_sel:BYTE_0 src1_sel:DWORD
	v_or_b32_sdwa v74, v86, v74 dst_sel:DWORD dst_unused:UNUSED_PAD src0_sel:WORD_0 src1_sel:DWORD
	v_bfe_u32 v86, v78, 8, 8
	v_lshlrev_b16 v41, 8, v41
	v_cndmask_b32_e64 v72, 1, v72, s6
	v_cmp_ne_u32_e64 s6, 11, v92
	v_or_b32_sdwa v82, v82, v99 dst_sel:DWORD dst_unused:UNUSED_PAD src0_sel:WORD_0 src1_sel:DWORD
	v_lshlrev_b16 v76, 8, v76
	v_lshlrev_b16 v83, 8, v83
	;; [unrolled: 1-line block ×3, first 2 shown]
	v_cndmask_b32_e64 v24, 1, v24, s6
	v_cmp_ne_u32_e64 s6, 7, v92
	v_or_b32_sdwa v22, v22, v76 dst_sel:DWORD dst_unused:UNUSED_PAD src0_sel:BYTE_0 src1_sel:DWORD
	v_or_b32_sdwa v41, v73, v41 dst_sel:WORD_1 dst_unused:UNUSED_PAD src0_sel:DWORD src1_sel:DWORD
	v_cndmask_b32_e32 v20, v82, v20, vcc_lo
	v_lshlrev_b16 v24, 8, v24
	v_cndmask_b32_e64 v86, 1, v86, s6
	v_cmp_ne_u32_e64 s6, 4, v92
	v_lshlrev_b16 v85, 8, v85
	v_or_b32_sdwa v23, v23, v83 dst_sel:DWORD dst_unused:UNUSED_PAD src0_sel:BYTE_0 src1_sel:DWORD
	v_or_b32_sdwa v24, v72, v24 dst_sel:WORD_1 dst_unused:UNUSED_PAD src0_sel:DWORD src1_sel:DWORD
	v_lshlrev_b16 v86, 8, v86
	v_cndmask_b32_e64 v21, 1, v21, s6
	v_cmp_ne_u32_e64 s6, 6, v92
	v_or_b32_sdwa v72, v75, v81 dst_sel:WORD_1 dst_unused:UNUSED_PAD src0_sel:DWORD src1_sel:DWORD
	v_or_b32_sdwa v22, v22, v24 dst_sel:DWORD dst_unused:UNUSED_PAD src0_sel:WORD_0 src1_sel:DWORD
	v_or_b32_sdwa v24, v84, v41 dst_sel:DWORD dst_unused:UNUSED_PAD src0_sel:WORD_0 src1_sel:DWORD
	v_lshrrev_b32_e32 v41, 8, v20
	v_cndmask_b32_e64 v78, 1, v78, s6
	v_cmp_ne_u32_e64 s6, 1, v91
	v_or_b32_sdwa v21, v21, v85 dst_sel:DWORD dst_unused:UNUSED_PAD src0_sel:BYTE_0 src1_sel:DWORD
	v_or_b32_sdwa v23, v23, v72 dst_sel:DWORD dst_unused:UNUSED_PAD src0_sel:WORD_0 src1_sel:DWORD
	v_lshrrev_b32_e32 v72, 24, v20
	v_or_b32_sdwa v76, v78, v86 dst_sel:WORD_1 dst_unused:UNUSED_PAD src0_sel:BYTE_0 src1_sel:DWORD
	v_cndmask_b32_e64 v41, 2, v41, s6
	v_cmp_ne_u32_e64 s6, 3, v91
	v_cndmask_b32_e32 v73, v74, v93, vcc_lo
	v_cndmask_b32_e32 v22, v22, v80, vcc_lo
	v_or_b32_sdwa v21, v21, v76 dst_sel:DWORD dst_unused:UNUSED_PAD src0_sel:WORD_0 src1_sel:DWORD
	v_cndmask_b32_e32 v23, v23, v79, vcc_lo
	v_cndmask_b32_e64 v72, 2, v72, s6
	v_cmp_ne_u32_e64 s6, 0, v91
	v_lshrrev_b32_e32 v74, 16, v20
	v_cndmask_b32_e32 v21, v21, v77, vcc_lo
	v_lshlrev_b16 v41, 8, v41
	v_cndmask_b32_e32 v24, v24, v26, vcc_lo
	v_cndmask_b32_e64 v75, 2, v20, s6
	v_cmp_ne_u32_e64 s6, 2, v91
	v_lshrrev_b32_e32 v26, 8, v73
	v_cmp_ne_u32_e32 vcc_lo, 21, v91
	v_lshlrev_b16 v72, 8, v72
	v_or_b32_sdwa v41, v75, v41 dst_sel:DWORD dst_unused:UNUSED_PAD src0_sel:BYTE_0 src1_sel:DWORD
	v_cndmask_b32_e64 v74, 2, v74, s6
	v_lshrrev_b32_e32 v75, 24, v73
	v_cndmask_b32_e32 v26, 2, v26, vcc_lo
	v_cmp_ne_u32_e32 vcc_lo, 23, v91
	v_lshrrev_b32_e32 v76, 16, v73
	v_or_b32_sdwa v72, v74, v72 dst_sel:WORD_1 dst_unused:UNUSED_PAD src0_sel:BYTE_0 src1_sel:DWORD
	v_lshrrev_b32_e32 v77, 8, v24
	v_lshlrev_b16 v26, 8, v26
	v_cndmask_b32_e32 v74, 2, v75, vcc_lo
	v_cmp_ne_u32_e32 vcc_lo, 20, v91
	v_or_b32_sdwa v41, v41, v72 dst_sel:DWORD dst_unused:UNUSED_PAD src0_sel:WORD_0 src1_sel:DWORD
	v_cmp_ne_u32_e64 s6, 18, v91
	v_lshrrev_b32_e32 v79, 8, v22
	v_lshlrev_b16 v74, 8, v74
	v_cndmask_b32_e32 v75, 2, v73, vcc_lo
	v_cmp_ne_u32_e32 vcc_lo, 22, v91
	v_lshrrev_b32_e32 v80, 24, v22
	v_lshrrev_b32_e32 v83, 16, v22
	;; [unrolled: 1-line block ×3, first 2 shown]
	v_or_b32_sdwa v26, v75, v26 dst_sel:DWORD dst_unused:UNUSED_PAD src0_sel:BYTE_0 src1_sel:DWORD
	v_cndmask_b32_e32 v76, 2, v76, vcc_lo
	v_cmp_ne_u32_e32 vcc_lo, 17, v91
	v_lshrrev_b32_e32 v85, 24, v21
	v_lshrrev_b32_e32 v75, 24, v24
	;; [unrolled: 1-line block ×3, first 2 shown]
	v_or_b32_sdwa v74, v76, v74 dst_sel:WORD_1 dst_unused:UNUSED_PAD src0_sel:BYTE_0 src1_sel:DWORD
	v_cndmask_b32_e32 v72, 2, v77, vcc_lo
	v_cmp_ne_u32_e32 vcc_lo, 16, v91
	v_lshrrev_b32_e32 v77, 24, v23
	v_lshrrev_b32_e32 v81, 16, v23
	v_or_b32_sdwa v26, v26, v74 dst_sel:DWORD dst_unused:UNUSED_PAD src0_sel:WORD_0 src1_sel:DWORD
	v_lshlrev_b16 v72, 8, v72
	v_cndmask_b32_e32 v76, 2, v24, vcc_lo
	v_lshrrev_b32_e32 v74, 16, v24
	v_cmp_ne_u32_e32 vcc_lo, 19, v91
	s_mov_b32 s8, 0x55555555
	s_mov_b32 s9, 0x3fd55555
	v_or_b32_sdwa v72, v76, v72 dst_sel:DWORD dst_unused:UNUSED_PAD src0_sel:BYTE_0 src1_sel:DWORD
	v_lshrrev_b32_e32 v76, 8, v23
	v_cndmask_b32_e64 v74, 2, v74, s6
	v_cmp_ne_u32_e64 s6, 13, v91
	v_cndmask_b32_e32 v75, 2, v75, vcc_lo
	v_cmp_eq_u32_e32 vcc_lo, 0, v95
	v_cndmask_b32_e64 v76, 2, v76, s6
	v_cmp_ne_u32_e64 s6, 15, v91
	v_lshlrev_b16 v75, 8, v75
	v_cndmask_b32_e32 v20, v41, v20, vcc_lo
	v_cndmask_b32_e32 v26, v26, v73, vcc_lo
	v_lshlrev_b16 v76, 8, v76
	v_cndmask_b32_e64 v77, 2, v77, s6
	v_cmp_ne_u32_e64 s6, 12, v91
	v_or_b32_sdwa v74, v74, v75 dst_sel:WORD_1 dst_unused:UNUSED_PAD src0_sel:BYTE_0 src1_sel:DWORD
	v_lshlrev_b16 v77, 8, v77
	v_cndmask_b32_e64 v78, 2, v23, s6
	v_cmp_ne_u32_e64 s6, 9, v91
	v_or_b32_sdwa v72, v72, v74 dst_sel:DWORD dst_unused:UNUSED_PAD src0_sel:WORD_0 src1_sel:DWORD
	v_lshrrev_b32_e32 v74, 8, v20
	v_or_b32_sdwa v76, v78, v76 dst_sel:DWORD dst_unused:UNUSED_PAD src0_sel:BYTE_0 src1_sel:DWORD
	v_cndmask_b32_e64 v79, 2, v79, s6
	v_cmp_ne_u32_e64 s6, 11, v91
	v_cndmask_b32_e32 v24, v72, v24, vcc_lo
	v_lshrrev_b32_e32 v72, 8, v26
	v_lshlrev_b16 v79, 8, v79
	v_cndmask_b32_e64 v80, 2, v80, s6
	v_cmp_ne_u32_e64 s6, 8, v91
	v_lshlrev_b16 v80, 8, v80
	v_cndmask_b32_e64 v82, 2, v22, s6
	v_cmp_ne_u32_e64 s6, 10, v91
	v_or_b32_sdwa v79, v82, v79 dst_sel:DWORD dst_unused:UNUSED_PAD src0_sel:BYTE_0 src1_sel:DWORD
	v_cndmask_b32_e64 v83, 2, v83, s6
	v_cmp_ne_u32_e64 s6, 5, v91
	v_or_b32_sdwa v80, v83, v80 dst_sel:WORD_1 dst_unused:UNUSED_PAD src0_sel:BYTE_0 src1_sel:DWORD
	v_cndmask_b32_e64 v84, 2, v84, s6
	v_cmp_ne_u32_e64 s6, 7, v91
	v_or_b32_sdwa v78, v79, v80 dst_sel:DWORD dst_unused:UNUSED_PAD src0_sel:WORD_0 src1_sel:DWORD
	v_lshlrev_b16 v84, 8, v84
	v_cndmask_b32_e64 v85, 2, v85, s6
	v_cmp_ne_u32_e64 s6, 4, v91
	v_cndmask_b32_e32 v22, v78, v22, vcc_lo
	v_lshlrev_b16 v85, 8, v85
	v_cndmask_b32_e64 v92, 2, v21, s6
	v_cmp_ne_u32_e64 s6, 6, v91
	v_lshrrev_b32_e32 v79, 8, v22
	v_lshrrev_b32_e32 v80, 24, v22
	;; [unrolled: 1-line block ×3, first 2 shown]
	v_or_b32_sdwa v82, v92, v84 dst_sel:DWORD dst_unused:UNUSED_PAD src0_sel:BYTE_0 src1_sel:DWORD
	v_cndmask_b32_e64 v86, 2, v86, s6
	v_cmp_ne_u32_e64 s6, 14, v91
	v_or_b32_sdwa v84, v86, v85 dst_sel:WORD_1 dst_unused:UNUSED_PAD src0_sel:BYTE_0 src1_sel:DWORD
	v_cndmask_b32_e64 v81, 2, v81, s6
	v_cmp_ne_u32_e64 s6, 1, v90
	v_or_b32_sdwa v75, v82, v84 dst_sel:DWORD dst_unused:UNUSED_PAD src0_sel:WORD_0 src1_sel:DWORD
	v_or_b32_sdwa v77, v81, v77 dst_sel:WORD_1 dst_unused:UNUSED_PAD src0_sel:BYTE_0 src1_sel:DWORD
	v_cndmask_b32_e64 v73, 3, v74, s6
	v_cmp_ne_u32_e64 s6, 3, v90
	v_lshrrev_b32_e32 v74, 16, v20
	v_cndmask_b32_e32 v21, v75, v21, vcc_lo
	v_or_b32_sdwa v41, v76, v77 dst_sel:DWORD dst_unused:UNUSED_PAD src0_sel:WORD_0 src1_sel:DWORD
	v_lshlrev_b16 v73, 8, v73
	v_lshrrev_b32_e32 v76, 16, v26
	v_lshrrev_b32_e32 v77, 8, v24
	v_lshrrev_b32_e32 v84, 8, v21
	v_cndmask_b32_e32 v23, v41, v23, vcc_lo
	v_lshrrev_b32_e32 v41, 24, v20
	v_cmp_ne_u32_e32 vcc_lo, 21, v90
	v_lshrrev_b32_e32 v85, 24, v21
	v_lshrrev_b32_e32 v86, 16, v21
	;; [unrolled: 1-line block ×3, first 2 shown]
	v_cndmask_b32_e64 v41, 3, v41, s6
	v_cmp_ne_u32_e64 s6, 0, v90
	v_cndmask_b32_e32 v72, 3, v72, vcc_lo
	v_cmp_ne_u32_e32 vcc_lo, 23, v90
	v_lshlrev_b16 v41, 8, v41
	v_cndmask_b32_e64 v75, 3, v20, s6
	v_cmp_ne_u32_e64 s6, 2, v90
	v_lshlrev_b16 v72, 8, v72
	v_or_b32_sdwa v73, v75, v73 dst_sel:DWORD dst_unused:UNUSED_PAD src0_sel:BYTE_0 src1_sel:DWORD
	v_cndmask_b32_e64 v74, 3, v74, s6
	v_lshrrev_b32_e32 v75, 24, v26
	v_cmp_ne_u32_e64 s6, 18, v90
	v_or_b32_sdwa v41, v74, v41 dst_sel:WORD_1 dst_unused:UNUSED_PAD src0_sel:BYTE_0 src1_sel:DWORD
	v_cndmask_b32_e32 v74, 3, v75, vcc_lo
	v_cmp_ne_u32_e32 vcc_lo, 20, v90
	v_or_b32_sdwa v41, v73, v41 dst_sel:DWORD dst_unused:UNUSED_PAD src0_sel:WORD_0 src1_sel:DWORD
	v_lshlrev_b16 v74, 8, v74
	v_cndmask_b32_e32 v75, 3, v26, vcc_lo
	v_cmp_ne_u32_e32 vcc_lo, 22, v90
	v_or_b32_sdwa v72, v75, v72 dst_sel:DWORD dst_unused:UNUSED_PAD src0_sel:BYTE_0 src1_sel:DWORD
	v_cndmask_b32_e32 v76, 3, v76, vcc_lo
	v_cmp_ne_u32_e32 vcc_lo, 17, v90
	v_lshrrev_b32_e32 v75, 24, v24
	v_or_b32_sdwa v74, v76, v74 dst_sel:WORD_1 dst_unused:UNUSED_PAD src0_sel:BYTE_0 src1_sel:DWORD
	v_cndmask_b32_e32 v73, 3, v77, vcc_lo
	v_cmp_ne_u32_e32 vcc_lo, 16, v90
	v_lshrrev_b32_e32 v77, 24, v23
	v_or_b32_sdwa v72, v72, v74 dst_sel:DWORD dst_unused:UNUSED_PAD src0_sel:WORD_0 src1_sel:DWORD
	v_lshlrev_b16 v73, 8, v73
	v_cndmask_b32_e32 v76, 3, v24, vcc_lo
	v_lshrrev_b32_e32 v74, 16, v24
	v_cmp_ne_u32_e32 vcc_lo, 19, v90
	v_or_b32_sdwa v73, v76, v73 dst_sel:DWORD dst_unused:UNUSED_PAD src0_sel:BYTE_0 src1_sel:DWORD
	v_lshrrev_b32_e32 v76, 8, v23
	v_cndmask_b32_e64 v74, 3, v74, s6
	v_cmp_ne_u32_e64 s6, 13, v90
	v_cndmask_b32_e32 v75, 3, v75, vcc_lo
	v_cmp_eq_u32_e32 vcc_lo, 0, v96
	v_cndmask_b32_e64 v76, 3, v76, s6
	v_cmp_ne_u32_e64 s6, 15, v90
	v_lshlrev_b16 v75, 8, v75
	v_cndmask_b32_e32 v20, v41, v20, vcc_lo
	v_cndmask_b32_e32 v26, v72, v26, vcc_lo
	v_lshlrev_b16 v76, 8, v76
	v_cndmask_b32_e64 v77, 3, v77, s6
	v_cmp_ne_u32_e64 s6, 12, v90
	v_or_b32_sdwa v74, v74, v75 dst_sel:WORD_1 dst_unused:UNUSED_PAD src0_sel:BYTE_0 src1_sel:DWORD
	v_lshlrev_b16 v77, 8, v77
	v_cndmask_b32_e64 v78, 3, v23, s6
	v_cmp_ne_u32_e64 s6, 9, v90
	v_or_b32_sdwa v73, v73, v74 dst_sel:DWORD dst_unused:UNUSED_PAD src0_sel:WORD_0 src1_sel:DWORD
	v_lshrrev_b32_e32 v74, 8, v20
	v_or_b32_sdwa v76, v78, v76 dst_sel:DWORD dst_unused:UNUSED_PAD src0_sel:BYTE_0 src1_sel:DWORD
	v_cndmask_b32_e64 v79, 3, v79, s6
	v_cmp_ne_u32_e64 s6, 11, v90
	v_cndmask_b32_e32 v24, v73, v24, vcc_lo
	v_lshrrev_b32_e32 v73, 8, v26
	v_lshlrev_b16 v79, 8, v79
	v_cndmask_b32_e64 v80, 3, v80, s6
	v_cmp_ne_u32_e64 s6, 8, v90
	v_lshlrev_b16 v80, 8, v80
	v_cndmask_b32_e64 v82, 3, v22, s6
	v_cmp_ne_u32_e64 s6, 10, v90
	v_or_b32_sdwa v79, v82, v79 dst_sel:DWORD dst_unused:UNUSED_PAD src0_sel:BYTE_0 src1_sel:DWORD
	v_cndmask_b32_e64 v83, 3, v83, s6
	v_cmp_ne_u32_e64 s6, 5, v90
	v_or_b32_sdwa v80, v83, v80 dst_sel:WORD_1 dst_unused:UNUSED_PAD src0_sel:BYTE_0 src1_sel:DWORD
	v_cndmask_b32_e64 v84, 3, v84, s6
	v_cmp_ne_u32_e64 s6, 7, v90
	v_or_b32_sdwa v78, v79, v80 dst_sel:DWORD dst_unused:UNUSED_PAD src0_sel:WORD_0 src1_sel:DWORD
	v_lshlrev_b16 v84, 8, v84
	v_cndmask_b32_e64 v85, 3, v85, s6
	v_cmp_ne_u32_e64 s6, 4, v90
	v_cndmask_b32_e32 v22, v78, v22, vcc_lo
	v_lshlrev_b16 v85, 8, v85
	v_cndmask_b32_e64 v91, 3, v21, s6
	v_cmp_ne_u32_e64 s6, 6, v90
	v_lshrrev_b32_e32 v79, 8, v22
	v_lshrrev_b32_e32 v80, 24, v22
	;; [unrolled: 1-line block ×3, first 2 shown]
	v_or_b32_sdwa v82, v91, v84 dst_sel:DWORD dst_unused:UNUSED_PAD src0_sel:BYTE_0 src1_sel:DWORD
	v_cndmask_b32_e64 v86, 3, v86, s6
	v_cmp_ne_u32_e64 s6, 14, v90
	v_or_b32_sdwa v84, v86, v85 dst_sel:WORD_1 dst_unused:UNUSED_PAD src0_sel:BYTE_0 src1_sel:DWORD
	v_cndmask_b32_e64 v81, 3, v81, s6
	v_cmp_ne_u32_e64 s6, 1, v88
	v_or_b32_sdwa v75, v82, v84 dst_sel:DWORD dst_unused:UNUSED_PAD src0_sel:WORD_0 src1_sel:DWORD
	v_or_b32_sdwa v77, v81, v77 dst_sel:WORD_1 dst_unused:UNUSED_PAD src0_sel:BYTE_0 src1_sel:DWORD
	v_cndmask_b32_e64 v72, 4, v74, s6
	v_cmp_ne_u32_e64 s6, 3, v88
	v_lshrrev_b32_e32 v74, 16, v20
	v_cndmask_b32_e32 v21, v75, v21, vcc_lo
	v_or_b32_sdwa v41, v76, v77 dst_sel:DWORD dst_unused:UNUSED_PAD src0_sel:WORD_0 src1_sel:DWORD
	v_lshlrev_b16 v72, 8, v72
	v_lshrrev_b32_e32 v76, 16, v26
	v_lshrrev_b32_e32 v77, 8, v24
	v_lshrrev_b32_e32 v84, 8, v21
	v_cndmask_b32_e32 v23, v41, v23, vcc_lo
	v_lshrrev_b32_e32 v41, 24, v20
	v_cmp_ne_u32_e32 vcc_lo, 21, v88
	v_lshrrev_b32_e32 v85, 24, v21
	v_lshrrev_b32_e32 v86, 16, v21
	;; [unrolled: 1-line block ×3, first 2 shown]
	v_cndmask_b32_e64 v41, 4, v41, s6
	v_cmp_ne_u32_e64 s6, 0, v88
	v_cndmask_b32_e32 v73, 4, v73, vcc_lo
	v_cmp_ne_u32_e32 vcc_lo, 23, v88
	v_lshlrev_b16 v41, 8, v41
	v_cndmask_b32_e64 v75, 4, v20, s6
	v_cmp_ne_u32_e64 s6, 2, v88
	v_lshlrev_b16 v73, 8, v73
	v_or_b32_sdwa v72, v75, v72 dst_sel:DWORD dst_unused:UNUSED_PAD src0_sel:BYTE_0 src1_sel:DWORD
	v_cndmask_b32_e64 v74, 4, v74, s6
	v_lshrrev_b32_e32 v75, 24, v26
	v_cmp_ne_u32_e64 s6, 18, v88
	v_or_b32_sdwa v41, v74, v41 dst_sel:WORD_1 dst_unused:UNUSED_PAD src0_sel:BYTE_0 src1_sel:DWORD
	v_cndmask_b32_e32 v74, 4, v75, vcc_lo
	v_cmp_ne_u32_e32 vcc_lo, 20, v88
	v_or_b32_sdwa v41, v72, v41 dst_sel:DWORD dst_unused:UNUSED_PAD src0_sel:WORD_0 src1_sel:DWORD
	v_lshlrev_b16 v74, 8, v74
	v_cndmask_b32_e32 v75, 4, v26, vcc_lo
	v_cmp_ne_u32_e32 vcc_lo, 22, v88
	v_or_b32_sdwa v72, v75, v73 dst_sel:DWORD dst_unused:UNUSED_PAD src0_sel:BYTE_0 src1_sel:DWORD
	v_cndmask_b32_e32 v76, 4, v76, vcc_lo
	v_cmp_ne_u32_e32 vcc_lo, 17, v88
	v_lshrrev_b32_e32 v75, 24, v24
	v_or_b32_sdwa v74, v76, v74 dst_sel:WORD_1 dst_unused:UNUSED_PAD src0_sel:BYTE_0 src1_sel:DWORD
	v_cndmask_b32_e32 v73, 4, v77, vcc_lo
	v_cmp_ne_u32_e32 vcc_lo, 16, v88
	v_lshrrev_b32_e32 v77, 24, v23
	v_or_b32_sdwa v72, v72, v74 dst_sel:DWORD dst_unused:UNUSED_PAD src0_sel:WORD_0 src1_sel:DWORD
	v_lshlrev_b16 v73, 8, v73
	v_cndmask_b32_e32 v76, 4, v24, vcc_lo
	v_lshrrev_b32_e32 v74, 16, v24
	v_cmp_ne_u32_e32 vcc_lo, 19, v88
	v_or_b32_sdwa v73, v76, v73 dst_sel:DWORD dst_unused:UNUSED_PAD src0_sel:BYTE_0 src1_sel:DWORD
	v_lshrrev_b32_e32 v76, 8, v23
	v_cndmask_b32_e64 v74, 4, v74, s6
	v_cmp_ne_u32_e64 s6, 13, v88
	v_cndmask_b32_e32 v75, 4, v75, vcc_lo
	v_cmp_eq_u32_e32 vcc_lo, 0, v89
	v_cndmask_b32_e64 v76, 4, v76, s6
	v_cmp_ne_u32_e64 s6, 15, v88
	v_lshlrev_b16 v75, 8, v75
	v_cndmask_b32_e32 v20, v41, v20, vcc_lo
	v_cndmask_b32_e32 v26, v72, v26, vcc_lo
	v_lshlrev_b16 v76, 8, v76
	v_cndmask_b32_e64 v77, 4, v77, s6
	v_cmp_ne_u32_e64 s6, 12, v88
	v_or_b32_sdwa v74, v74, v75 dst_sel:WORD_1 dst_unused:UNUSED_PAD src0_sel:BYTE_0 src1_sel:DWORD
	v_lshlrev_b16 v77, 8, v77
	v_cndmask_b32_e64 v78, 4, v23, s6
	v_cmp_ne_u32_e64 s6, 9, v88
	v_or_b32_sdwa v73, v73, v74 dst_sel:DWORD dst_unused:UNUSED_PAD src0_sel:WORD_0 src1_sel:DWORD
	v_lshrrev_b32_e32 v74, 8, v20
	v_or_b32_sdwa v76, v78, v76 dst_sel:DWORD dst_unused:UNUSED_PAD src0_sel:BYTE_0 src1_sel:DWORD
	v_cndmask_b32_e64 v79, 4, v79, s6
	v_cmp_ne_u32_e64 s6, 11, v88
	v_cndmask_b32_e32 v24, v73, v24, vcc_lo
	v_lshrrev_b32_e32 v73, 8, v26
	v_lshlrev_b16 v79, 8, v79
	v_cndmask_b32_e64 v80, 4, v80, s6
	v_cmp_ne_u32_e64 s6, 8, v88
	v_lshlrev_b16 v80, 8, v80
	v_cndmask_b32_e64 v82, 4, v22, s6
	v_cmp_ne_u32_e64 s6, 10, v88
	v_or_b32_sdwa v79, v82, v79 dst_sel:DWORD dst_unused:UNUSED_PAD src0_sel:BYTE_0 src1_sel:DWORD
	v_cndmask_b32_e64 v83, 4, v83, s6
	v_cmp_ne_u32_e64 s6, 5, v88
	v_or_b32_sdwa v80, v83, v80 dst_sel:WORD_1 dst_unused:UNUSED_PAD src0_sel:BYTE_0 src1_sel:DWORD
	v_cndmask_b32_e64 v84, 4, v84, s6
	v_cmp_ne_u32_e64 s6, 7, v88
	v_or_b32_sdwa v78, v79, v80 dst_sel:DWORD dst_unused:UNUSED_PAD src0_sel:WORD_0 src1_sel:DWORD
	v_lshlrev_b16 v84, 8, v84
	v_cndmask_b32_e64 v85, 4, v85, s6
	v_cmp_ne_u32_e64 s6, 4, v88
	v_cndmask_b32_e32 v22, v78, v22, vcc_lo
	v_lshlrev_b16 v85, 8, v85
	v_cndmask_b32_e64 v89, 4, v21, s6
	v_cmp_ne_u32_e64 s6, 6, v88
	v_lshrrev_b32_e32 v79, 8, v22
	v_lshrrev_b32_e32 v80, 24, v22
	;; [unrolled: 1-line block ×3, first 2 shown]
	v_or_b32_sdwa v82, v89, v84 dst_sel:DWORD dst_unused:UNUSED_PAD src0_sel:BYTE_0 src1_sel:DWORD
	v_cndmask_b32_e64 v86, 4, v86, s6
	v_cmp_ne_u32_e64 s6, 14, v88
	v_or_b32_sdwa v84, v86, v85 dst_sel:WORD_1 dst_unused:UNUSED_PAD src0_sel:BYTE_0 src1_sel:DWORD
	v_cndmask_b32_e64 v81, 4, v81, s6
	v_cmp_ne_u32_e64 s6, 1, v71
	v_or_b32_sdwa v75, v82, v84 dst_sel:DWORD dst_unused:UNUSED_PAD src0_sel:WORD_0 src1_sel:DWORD
	v_or_b32_sdwa v77, v81, v77 dst_sel:WORD_1 dst_unused:UNUSED_PAD src0_sel:BYTE_0 src1_sel:DWORD
	v_cndmask_b32_e64 v72, 5, v74, s6
	v_cmp_ne_u32_e64 s6, 3, v71
	v_lshrrev_b32_e32 v74, 16, v20
	v_cndmask_b32_e32 v21, v75, v21, vcc_lo
	v_or_b32_sdwa v41, v76, v77 dst_sel:DWORD dst_unused:UNUSED_PAD src0_sel:WORD_0 src1_sel:DWORD
	v_lshlrev_b16 v72, 8, v72
	v_lshrrev_b32_e32 v76, 16, v26
	v_lshrrev_b32_e32 v77, 8, v24
	;; [unrolled: 1-line block ×3, first 2 shown]
	v_cndmask_b32_e32 v23, v41, v23, vcc_lo
	v_lshrrev_b32_e32 v41, 24, v20
	v_cmp_ne_u32_e32 vcc_lo, 21, v71
	v_lshrrev_b32_e32 v85, 24, v21
	v_lshrrev_b32_e32 v86, 16, v21
	;; [unrolled: 1-line block ×3, first 2 shown]
	v_cndmask_b32_e64 v41, 5, v41, s6
	v_cmp_ne_u32_e64 s6, 0, v71
	v_cndmask_b32_e32 v73, 5, v73, vcc_lo
	v_cmp_ne_u32_e32 vcc_lo, 23, v71
	v_lshlrev_b16 v41, 8, v41
	v_cndmask_b32_e64 v75, 5, v20, s6
	v_cmp_ne_u32_e64 s6, 2, v71
	v_lshlrev_b16 v73, 8, v73
	v_or_b32_sdwa v72, v75, v72 dst_sel:DWORD dst_unused:UNUSED_PAD src0_sel:BYTE_0 src1_sel:DWORD
	v_cndmask_b32_e64 v74, 5, v74, s6
	v_lshrrev_b32_e32 v75, 24, v26
	v_cmp_ne_u32_e64 s6, 18, v71
	v_or_b32_sdwa v41, v74, v41 dst_sel:WORD_1 dst_unused:UNUSED_PAD src0_sel:BYTE_0 src1_sel:DWORD
	v_cndmask_b32_e32 v74, 5, v75, vcc_lo
	v_cmp_ne_u32_e32 vcc_lo, 20, v71
	v_or_b32_sdwa v41, v72, v41 dst_sel:DWORD dst_unused:UNUSED_PAD src0_sel:WORD_0 src1_sel:DWORD
	v_lshlrev_b16 v74, 8, v74
	v_cndmask_b32_e32 v75, 5, v26, vcc_lo
	v_cmp_ne_u32_e32 vcc_lo, 22, v71
	v_or_b32_sdwa v72, v75, v73 dst_sel:DWORD dst_unused:UNUSED_PAD src0_sel:BYTE_0 src1_sel:DWORD
	v_cndmask_b32_e32 v76, 5, v76, vcc_lo
	v_cmp_ne_u32_e32 vcc_lo, 17, v71
	v_lshrrev_b32_e32 v75, 24, v24
	v_or_b32_sdwa v74, v76, v74 dst_sel:WORD_1 dst_unused:UNUSED_PAD src0_sel:BYTE_0 src1_sel:DWORD
	v_cndmask_b32_e32 v73, 5, v77, vcc_lo
	v_cmp_ne_u32_e32 vcc_lo, 16, v71
	v_lshrrev_b32_e32 v77, 24, v23
	v_or_b32_sdwa v72, v72, v74 dst_sel:DWORD dst_unused:UNUSED_PAD src0_sel:WORD_0 src1_sel:DWORD
	v_lshlrev_b16 v73, 8, v73
	v_cndmask_b32_e32 v76, 5, v24, vcc_lo
	v_lshrrev_b32_e32 v74, 16, v24
	v_cmp_ne_u32_e32 vcc_lo, 19, v71
	v_or_b32_sdwa v73, v76, v73 dst_sel:DWORD dst_unused:UNUSED_PAD src0_sel:BYTE_0 src1_sel:DWORD
	v_lshrrev_b32_e32 v76, 8, v23
	v_cndmask_b32_e64 v74, 5, v74, s6
	v_cmp_ne_u32_e64 s6, 13, v71
	v_cndmask_b32_e32 v75, 5, v75, vcc_lo
	v_cmp_eq_u32_e32 vcc_lo, 0, v87
	v_cndmask_b32_e64 v76, 5, v76, s6
	v_cmp_ne_u32_e64 s6, 15, v71
	v_lshlrev_b16 v75, 8, v75
	v_cndmask_b32_e32 v20, v41, v20, vcc_lo
	v_cndmask_b32_e32 v26, v72, v26, vcc_lo
	v_lshlrev_b16 v76, 8, v76
	v_cndmask_b32_e64 v77, 5, v77, s6
	v_cmp_ne_u32_e64 s6, 12, v71
	v_or_b32_sdwa v74, v74, v75 dst_sel:WORD_1 dst_unused:UNUSED_PAD src0_sel:BYTE_0 src1_sel:DWORD
	v_lshlrev_b16 v77, 8, v77
	v_cndmask_b32_e64 v78, 5, v23, s6
	v_cmp_ne_u32_e64 s6, 9, v71
	v_or_b32_sdwa v76, v78, v76 dst_sel:DWORD dst_unused:UNUSED_PAD src0_sel:BYTE_0 src1_sel:DWORD
	v_cndmask_b32_e64 v79, 5, v79, s6
	v_cmp_ne_u32_e64 s6, 11, v71
	v_lshlrev_b16 v79, 8, v79
	v_cndmask_b32_e64 v80, 5, v80, s6
	v_cmp_ne_u32_e64 s6, 8, v71
	v_lshlrev_b16 v80, 8, v80
	v_cndmask_b32_e64 v82, 5, v22, s6
	v_cmp_ne_u32_e64 s6, 10, v71
	v_or_b32_sdwa v79, v82, v79 dst_sel:DWORD dst_unused:UNUSED_PAD src0_sel:BYTE_0 src1_sel:DWORD
	v_cndmask_b32_e64 v83, 5, v83, s6
	v_cmp_ne_u32_e64 s6, 5, v71
	v_or_b32_sdwa v80, v83, v80 dst_sel:WORD_1 dst_unused:UNUSED_PAD src0_sel:BYTE_0 src1_sel:DWORD
	v_cndmask_b32_e64 v84, 5, v84, s6
	v_cmp_ne_u32_e64 s6, 7, v71
	v_lshlrev_b16 v84, 8, v84
	v_cndmask_b32_e64 v85, 5, v85, s6
	v_cmp_ne_u32_e64 s6, 4, v71
	v_lshlrev_b16 v85, 8, v85
	v_cndmask_b32_e64 v87, 5, v21, s6
	v_cmp_ne_u32_e64 s6, 6, v71
	v_cndmask_b32_e64 v86, 5, v86, s6
	v_cmp_ne_u32_e64 s6, 14, v71
	v_or_b32_sdwa v82, v86, v85 dst_sel:WORD_1 dst_unused:UNUSED_PAD src0_sel:BYTE_0 src1_sel:DWORD
	v_cndmask_b32_e64 v71, 5, v81, s6
	v_cmp_ne_u32_e64 s6, 1, v69
	v_or_b32_sdwa v81, v87, v84 dst_sel:DWORD dst_unused:UNUSED_PAD src0_sel:BYTE_0 src1_sel:DWORD
	v_or_b32_sdwa v71, v71, v77 dst_sel:WORD_1 dst_unused:UNUSED_PAD src0_sel:BYTE_0 src1_sel:DWORD
	v_or_b32_sdwa v77, v79, v80 dst_sel:DWORD dst_unused:UNUSED_PAD src0_sel:WORD_0 src1_sel:DWORD
	v_or_b32_sdwa v75, v81, v82 dst_sel:DWORD dst_unused:UNUSED_PAD src0_sel:WORD_0 src1_sel:DWORD
	;; [unrolled: 1-line block ×4, first 2 shown]
	v_lshrrev_b32_e32 v73, 8, v20
	v_cndmask_b32_e32 v21, v75, v21, vcc_lo
	v_cndmask_b32_e32 v22, v77, v22, vcc_lo
	;; [unrolled: 1-line block ×3, first 2 shown]
	v_lshrrev_b32_e32 v41, 24, v20
	v_cndmask_b32_e64 v72, 6, v73, s6
	v_cmp_ne_u32_e64 s6, 3, v69
	v_lshrrev_b32_e32 v73, 16, v20
	v_cndmask_b32_e32 v24, v71, v24, vcc_lo
	v_lshrrev_b32_e32 v71, 8, v26
	v_lshlrev_b16 v72, 8, v72
	v_cndmask_b32_e64 v41, 6, v41, s6
	v_cmp_ne_u32_e64 s6, 0, v69
	v_cmp_ne_u32_e32 vcc_lo, 21, v69
	v_lshrrev_b32_e32 v75, 16, v26
	v_lshrrev_b32_e32 v76, 8, v24
	v_lshlrev_b16 v41, 8, v41
	v_cndmask_b32_e64 v74, 6, v20, s6
	v_cmp_ne_u32_e64 s6, 2, v69
	v_cndmask_b32_e32 v71, 6, v71, vcc_lo
	v_cmp_ne_u32_e32 vcc_lo, 23, v69
	v_lshrrev_b32_e32 v77, 8, v22
	v_or_b32_sdwa v72, v74, v72 dst_sel:DWORD dst_unused:UNUSED_PAD src0_sel:BYTE_0 src1_sel:DWORD
	v_cndmask_b32_e64 v73, 6, v73, s6
	v_lshrrev_b32_e32 v74, 24, v26
	v_lshlrev_b16 v71, 8, v71
	v_cmp_ne_u32_e64 s6, 18, v69
	v_lshrrev_b32_e32 v78, 24, v22
	v_or_b32_sdwa v41, v73, v41 dst_sel:WORD_1 dst_unused:UNUSED_PAD src0_sel:BYTE_0 src1_sel:DWORD
	v_cndmask_b32_e32 v73, 6, v74, vcc_lo
	v_cmp_ne_u32_e32 vcc_lo, 20, v69
	v_lshrrev_b32_e32 v81, 16, v22
	v_lshrrev_b32_e32 v82, 8, v21
	v_or_b32_sdwa v41, v72, v41 dst_sel:DWORD dst_unused:UNUSED_PAD src0_sel:WORD_0 src1_sel:DWORD
	v_lshlrev_b16 v73, 8, v73
	v_cndmask_b32_e32 v74, 6, v26, vcc_lo
	v_cmp_ne_u32_e32 vcc_lo, 22, v69
	v_lshrrev_b32_e32 v83, 24, v21
	v_lshrrev_b32_e32 v84, 16, v21
	v_lshrrev_b32_e32 v79, 16, v23
	v_or_b32_sdwa v71, v74, v71 dst_sel:DWORD dst_unused:UNUSED_PAD src0_sel:BYTE_0 src1_sel:DWORD
	v_cndmask_b32_e32 v75, 6, v75, vcc_lo
	v_cmp_ne_u32_e32 vcc_lo, 17, v69
	v_lshrrev_b32_e32 v74, 24, v24
	v_or_b32_sdwa v73, v75, v73 dst_sel:WORD_1 dst_unused:UNUSED_PAD src0_sel:BYTE_0 src1_sel:DWORD
	v_cndmask_b32_e32 v72, 6, v76, vcc_lo
	v_cmp_ne_u32_e32 vcc_lo, 16, v69
	v_lshlrev_b16 v72, 8, v72
	v_cndmask_b32_e32 v75, 6, v24, vcc_lo
	v_cmp_ne_u32_e32 vcc_lo, 19, v69
	v_cndmask_b32_e32 v74, 6, v74, vcc_lo
	v_cmp_eq_u32_e32 vcc_lo, 0, v70
	v_or_b32_sdwa v70, v71, v73 dst_sel:DWORD dst_unused:UNUSED_PAD src0_sel:WORD_0 src1_sel:DWORD
	v_or_b32_sdwa v71, v75, v72 dst_sel:DWORD dst_unused:UNUSED_PAD src0_sel:BYTE_0 src1_sel:DWORD
	v_lshrrev_b32_e32 v72, 16, v24
	v_lshlrev_b16 v73, 8, v74
	v_lshrrev_b32_e32 v74, 8, v23
	v_lshrrev_b32_e32 v75, 24, v23
	v_cndmask_b32_e32 v20, v41, v20, vcc_lo
	v_cndmask_b32_e64 v72, 6, v72, s6
	v_cmp_ne_u32_e64 s6, 13, v69
	v_cndmask_b32_e32 v26, v70, v26, vcc_lo
	v_or_b32_sdwa v72, v72, v73 dst_sel:WORD_1 dst_unused:UNUSED_PAD src0_sel:BYTE_0 src1_sel:DWORD
	v_cndmask_b32_e64 v74, 6, v74, s6
	v_cmp_ne_u32_e64 s6, 15, v69
	v_lshlrev_b16 v74, 8, v74
	v_cndmask_b32_e64 v75, 6, v75, s6
	v_cmp_ne_u32_e64 s6, 12, v69
	v_lshlrev_b16 v75, 8, v75
	v_cndmask_b32_e64 v76, 6, v23, s6
	v_cmp_ne_u32_e64 s6, 9, v69
	v_or_b32_sdwa v74, v76, v74 dst_sel:DWORD dst_unused:UNUSED_PAD src0_sel:BYTE_0 src1_sel:DWORD
	v_cndmask_b32_e64 v77, 6, v77, s6
	v_cmp_ne_u32_e64 s6, 11, v69
	v_lshlrev_b16 v77, 8, v77
	v_cndmask_b32_e64 v78, 6, v78, s6
	v_cmp_ne_u32_e64 s6, 8, v69
	v_lshlrev_b16 v78, 8, v78
	v_cndmask_b32_e64 v80, 6, v22, s6
	v_cmp_ne_u32_e64 s6, 10, v69
	v_or_b32_sdwa v77, v80, v77 dst_sel:DWORD dst_unused:UNUSED_PAD src0_sel:BYTE_0 src1_sel:DWORD
	v_cndmask_b32_e64 v81, 6, v81, s6
	v_cmp_ne_u32_e64 s6, 5, v69
	v_or_b32_sdwa v78, v81, v78 dst_sel:WORD_1 dst_unused:UNUSED_PAD src0_sel:BYTE_0 src1_sel:DWORD
	v_cndmask_b32_e64 v82, 6, v82, s6
	v_cmp_ne_u32_e64 s6, 7, v69
	v_lshlrev_b16 v82, 8, v82
	v_cndmask_b32_e64 v83, 6, v83, s6
	v_cmp_ne_u32_e64 s6, 4, v69
	v_lshlrev_b16 v83, 8, v83
	v_cndmask_b32_e64 v85, 6, v21, s6
	v_cmp_ne_u32_e64 s6, 6, v69
	v_cndmask_b32_e64 v84, 6, v84, s6
	v_cmp_ne_u32_e64 s6, 14, v69
	v_or_b32_sdwa v80, v84, v83 dst_sel:WORD_1 dst_unused:UNUSED_PAD src0_sel:BYTE_0 src1_sel:DWORD
	v_cndmask_b32_e64 v69, 6, v79, s6
	v_cmp_ne_u32_e64 s6, 1, v67
	v_or_b32_sdwa v79, v85, v82 dst_sel:DWORD dst_unused:UNUSED_PAD src0_sel:BYTE_0 src1_sel:DWORD
	v_or_b32_sdwa v69, v69, v75 dst_sel:WORD_1 dst_unused:UNUSED_PAD src0_sel:BYTE_0 src1_sel:DWORD
	v_or_b32_sdwa v75, v77, v78 dst_sel:DWORD dst_unused:UNUSED_PAD src0_sel:WORD_0 src1_sel:DWORD
	v_or_b32_sdwa v73, v79, v80 dst_sel:DWORD dst_unused:UNUSED_PAD src0_sel:WORD_0 src1_sel:DWORD
	;; [unrolled: 1-line block ×4, first 2 shown]
	v_lshrrev_b32_e32 v71, 8, v20
	v_cndmask_b32_e32 v21, v73, v21, vcc_lo
	v_cndmask_b32_e32 v22, v75, v22, vcc_lo
	;; [unrolled: 1-line block ×3, first 2 shown]
	v_lshrrev_b32_e32 v41, 24, v20
	v_cndmask_b32_e64 v70, 7, v71, s6
	v_cmp_ne_u32_e64 s6, 3, v67
	v_lshrrev_b32_e32 v71, 16, v20
	v_cndmask_b32_e32 v24, v69, v24, vcc_lo
	v_lshrrev_b32_e32 v69, 8, v26
	v_lshlrev_b16 v70, 8, v70
	v_cndmask_b32_e64 v41, 7, v41, s6
	v_cmp_ne_u32_e64 s6, 0, v67
	v_cmp_ne_u32_e32 vcc_lo, 21, v67
	v_lshrrev_b32_e32 v73, 16, v26
	v_lshrrev_b32_e32 v74, 8, v24
	v_lshlrev_b16 v41, 8, v41
	v_cndmask_b32_e64 v72, 7, v20, s6
	v_cmp_ne_u32_e64 s6, 2, v67
	v_cndmask_b32_e32 v69, 7, v69, vcc_lo
	v_cmp_ne_u32_e32 vcc_lo, 23, v67
	v_lshrrev_b32_e32 v75, 8, v22
	v_or_b32_sdwa v70, v72, v70 dst_sel:DWORD dst_unused:UNUSED_PAD src0_sel:BYTE_0 src1_sel:DWORD
	v_cndmask_b32_e64 v71, 7, v71, s6
	v_lshrrev_b32_e32 v72, 24, v26
	v_lshlrev_b16 v69, 8, v69
	v_cmp_ne_u32_e64 s6, 18, v67
	v_lshrrev_b32_e32 v76, 24, v22
	v_or_b32_sdwa v41, v71, v41 dst_sel:WORD_1 dst_unused:UNUSED_PAD src0_sel:BYTE_0 src1_sel:DWORD
	v_cndmask_b32_e32 v71, 7, v72, vcc_lo
	v_cmp_ne_u32_e32 vcc_lo, 20, v67
	v_lshrrev_b32_e32 v79, 16, v22
	v_lshrrev_b32_e32 v80, 8, v21
	v_or_b32_sdwa v41, v70, v41 dst_sel:DWORD dst_unused:UNUSED_PAD src0_sel:WORD_0 src1_sel:DWORD
	v_lshlrev_b16 v71, 8, v71
	v_cndmask_b32_e32 v72, 7, v26, vcc_lo
	v_cmp_ne_u32_e32 vcc_lo, 22, v67
	v_lshrrev_b32_e32 v81, 24, v21
	v_lshrrev_b32_e32 v82, 16, v21
	;; [unrolled: 1-line block ×3, first 2 shown]
	v_or_b32_sdwa v69, v72, v69 dst_sel:DWORD dst_unused:UNUSED_PAD src0_sel:BYTE_0 src1_sel:DWORD
	v_cndmask_b32_e32 v73, 7, v73, vcc_lo
	v_cmp_ne_u32_e32 vcc_lo, 17, v67
	v_lshrrev_b32_e32 v72, 24, v24
	v_or_b32_sdwa v71, v73, v71 dst_sel:WORD_1 dst_unused:UNUSED_PAD src0_sel:BYTE_0 src1_sel:DWORD
	v_cndmask_b32_e32 v70, 7, v74, vcc_lo
	v_cmp_ne_u32_e32 vcc_lo, 16, v67
	v_lshlrev_b16 v70, 8, v70
	v_cndmask_b32_e32 v73, 7, v24, vcc_lo
	v_cmp_ne_u32_e32 vcc_lo, 19, v67
	v_cndmask_b32_e32 v72, 7, v72, vcc_lo
	v_cmp_eq_u32_e32 vcc_lo, 0, v68
	v_or_b32_sdwa v68, v69, v71 dst_sel:DWORD dst_unused:UNUSED_PAD src0_sel:WORD_0 src1_sel:DWORD
	v_or_b32_sdwa v69, v73, v70 dst_sel:DWORD dst_unused:UNUSED_PAD src0_sel:BYTE_0 src1_sel:DWORD
	v_lshrrev_b32_e32 v70, 16, v24
	v_lshlrev_b16 v71, 8, v72
	v_lshrrev_b32_e32 v72, 8, v23
	v_lshrrev_b32_e32 v73, 24, v23
	v_cndmask_b32_e32 v20, v41, v20, vcc_lo
	v_cndmask_b32_e64 v70, 7, v70, s6
	v_cmp_ne_u32_e64 s6, 13, v67
	v_cndmask_b32_e32 v26, v68, v26, vcc_lo
	v_or_b32_sdwa v70, v70, v71 dst_sel:WORD_1 dst_unused:UNUSED_PAD src0_sel:BYTE_0 src1_sel:DWORD
	v_cndmask_b32_e64 v72, 7, v72, s6
	v_cmp_ne_u32_e64 s6, 15, v67
	v_lshlrev_b16 v72, 8, v72
	v_cndmask_b32_e64 v73, 7, v73, s6
	v_cmp_ne_u32_e64 s6, 12, v67
	v_lshlrev_b16 v73, 8, v73
	v_cndmask_b32_e64 v74, 7, v23, s6
	v_cmp_ne_u32_e64 s6, 9, v67
	v_or_b32_sdwa v72, v74, v72 dst_sel:DWORD dst_unused:UNUSED_PAD src0_sel:BYTE_0 src1_sel:DWORD
	v_cndmask_b32_e64 v75, 7, v75, s6
	v_cmp_ne_u32_e64 s6, 11, v67
	v_lshlrev_b16 v75, 8, v75
	v_cndmask_b32_e64 v76, 7, v76, s6
	v_cmp_ne_u32_e64 s6, 8, v67
	v_lshlrev_b16 v76, 8, v76
	v_cndmask_b32_e64 v78, 7, v22, s6
	v_cmp_ne_u32_e64 s6, 10, v67
	v_or_b32_sdwa v75, v78, v75 dst_sel:DWORD dst_unused:UNUSED_PAD src0_sel:BYTE_0 src1_sel:DWORD
	v_cndmask_b32_e64 v79, 7, v79, s6
	v_cmp_ne_u32_e64 s6, 5, v67
	v_or_b32_sdwa v76, v79, v76 dst_sel:WORD_1 dst_unused:UNUSED_PAD src0_sel:BYTE_0 src1_sel:DWORD
	v_cndmask_b32_e64 v80, 7, v80, s6
	v_cmp_ne_u32_e64 s6, 7, v67
	v_lshlrev_b16 v80, 8, v80
	v_cndmask_b32_e64 v81, 7, v81, s6
	v_cmp_ne_u32_e64 s6, 4, v67
	v_lshlrev_b16 v81, 8, v81
	v_cndmask_b32_e64 v83, 7, v21, s6
	v_cmp_ne_u32_e64 s6, 6, v67
	v_cndmask_b32_e64 v82, 7, v82, s6
	v_cmp_ne_u32_e64 s6, 14, v67
	v_or_b32_sdwa v78, v82, v81 dst_sel:WORD_1 dst_unused:UNUSED_PAD src0_sel:BYTE_0 src1_sel:DWORD
	v_cndmask_b32_e64 v67, 7, v77, s6
	v_cmp_ne_u32_e64 s6, 1, v65
	v_or_b32_sdwa v77, v83, v80 dst_sel:DWORD dst_unused:UNUSED_PAD src0_sel:BYTE_0 src1_sel:DWORD
	v_or_b32_sdwa v67, v67, v73 dst_sel:WORD_1 dst_unused:UNUSED_PAD src0_sel:BYTE_0 src1_sel:DWORD
	v_or_b32_sdwa v73, v75, v76 dst_sel:DWORD dst_unused:UNUSED_PAD src0_sel:WORD_0 src1_sel:DWORD
	v_or_b32_sdwa v71, v77, v78 dst_sel:DWORD dst_unused:UNUSED_PAD src0_sel:WORD_0 src1_sel:DWORD
	;; [unrolled: 1-line block ×4, first 2 shown]
	v_lshrrev_b32_e32 v69, 8, v20
	v_cndmask_b32_e32 v21, v71, v21, vcc_lo
	v_cndmask_b32_e32 v22, v73, v22, vcc_lo
	;; [unrolled: 1-line block ×3, first 2 shown]
	v_lshrrev_b32_e32 v41, 24, v20
	v_cndmask_b32_e64 v68, 8, v69, s6
	v_cmp_ne_u32_e64 s6, 3, v65
	v_lshrrev_b32_e32 v69, 16, v20
	v_cndmask_b32_e32 v24, v67, v24, vcc_lo
	v_lshrrev_b32_e32 v67, 8, v26
	v_lshlrev_b16 v68, 8, v68
	v_cndmask_b32_e64 v41, 8, v41, s6
	v_cmp_ne_u32_e64 s6, 0, v65
	v_cmp_ne_u32_e32 vcc_lo, 21, v65
	v_lshrrev_b32_e32 v71, 16, v26
	v_lshrrev_b32_e32 v72, 8, v24
	v_lshlrev_b16 v41, 8, v41
	v_cndmask_b32_e64 v70, 8, v20, s6
	v_cmp_ne_u32_e64 s6, 2, v65
	v_cndmask_b32_e32 v67, 8, v67, vcc_lo
	v_cmp_ne_u32_e32 vcc_lo, 23, v65
	v_lshrrev_b32_e32 v73, 8, v22
	v_or_b32_sdwa v68, v70, v68 dst_sel:DWORD dst_unused:UNUSED_PAD src0_sel:BYTE_0 src1_sel:DWORD
	v_cndmask_b32_e64 v69, 8, v69, s6
	v_lshrrev_b32_e32 v70, 24, v26
	v_lshlrev_b16 v67, 8, v67
	v_cmp_ne_u32_e64 s6, 18, v65
	v_lshrrev_b32_e32 v74, 24, v22
	v_or_b32_sdwa v41, v69, v41 dst_sel:WORD_1 dst_unused:UNUSED_PAD src0_sel:BYTE_0 src1_sel:DWORD
	v_cndmask_b32_e32 v69, 8, v70, vcc_lo
	v_cmp_ne_u32_e32 vcc_lo, 20, v65
	v_lshrrev_b32_e32 v77, 16, v22
	v_lshrrev_b32_e32 v78, 8, v21
	v_or_b32_sdwa v41, v68, v41 dst_sel:DWORD dst_unused:UNUSED_PAD src0_sel:WORD_0 src1_sel:DWORD
	v_lshlrev_b16 v69, 8, v69
	v_cndmask_b32_e32 v70, 8, v26, vcc_lo
	v_cmp_ne_u32_e32 vcc_lo, 22, v65
	v_lshrrev_b32_e32 v79, 24, v21
	v_lshrrev_b32_e32 v80, 16, v21
	;; [unrolled: 1-line block ×3, first 2 shown]
	v_or_b32_sdwa v67, v70, v67 dst_sel:DWORD dst_unused:UNUSED_PAD src0_sel:BYTE_0 src1_sel:DWORD
	v_cndmask_b32_e32 v71, 8, v71, vcc_lo
	v_cmp_ne_u32_e32 vcc_lo, 17, v65
	v_lshrrev_b32_e32 v70, 24, v24
	v_or_b32_sdwa v69, v71, v69 dst_sel:WORD_1 dst_unused:UNUSED_PAD src0_sel:BYTE_0 src1_sel:DWORD
	v_cndmask_b32_e32 v68, 8, v72, vcc_lo
	v_cmp_ne_u32_e32 vcc_lo, 16, v65
	v_lshlrev_b16 v68, 8, v68
	v_cndmask_b32_e32 v71, 8, v24, vcc_lo
	v_cmp_ne_u32_e32 vcc_lo, 19, v65
	v_cndmask_b32_e32 v70, 8, v70, vcc_lo
	v_cmp_eq_u32_e32 vcc_lo, 0, v66
	v_or_b32_sdwa v66, v67, v69 dst_sel:DWORD dst_unused:UNUSED_PAD src0_sel:WORD_0 src1_sel:DWORD
	v_or_b32_sdwa v67, v71, v68 dst_sel:DWORD dst_unused:UNUSED_PAD src0_sel:BYTE_0 src1_sel:DWORD
	v_lshrrev_b32_e32 v68, 16, v24
	v_lshlrev_b16 v69, 8, v70
	v_lshrrev_b32_e32 v70, 8, v23
	v_lshrrev_b32_e32 v71, 24, v23
	v_cndmask_b32_e32 v20, v41, v20, vcc_lo
	v_cndmask_b32_e64 v68, 8, v68, s6
	v_cmp_ne_u32_e64 s6, 13, v65
	v_cndmask_b32_e32 v26, v66, v26, vcc_lo
	v_or_b32_sdwa v68, v68, v69 dst_sel:WORD_1 dst_unused:UNUSED_PAD src0_sel:BYTE_0 src1_sel:DWORD
	v_cndmask_b32_e64 v70, 8, v70, s6
	v_cmp_ne_u32_e64 s6, 15, v65
	v_lshlrev_b16 v70, 8, v70
	v_cndmask_b32_e64 v71, 8, v71, s6
	v_cmp_ne_u32_e64 s6, 12, v65
	v_lshlrev_b16 v71, 8, v71
	v_cndmask_b32_e64 v72, 8, v23, s6
	v_cmp_ne_u32_e64 s6, 9, v65
	v_or_b32_sdwa v70, v72, v70 dst_sel:DWORD dst_unused:UNUSED_PAD src0_sel:BYTE_0 src1_sel:DWORD
	v_cndmask_b32_e64 v73, 8, v73, s6
	v_cmp_ne_u32_e64 s6, 11, v65
	v_lshlrev_b16 v73, 8, v73
	v_cndmask_b32_e64 v74, 8, v74, s6
	v_cmp_ne_u32_e64 s6, 8, v65
	v_lshlrev_b16 v74, 8, v74
	v_cndmask_b32_e64 v76, 8, v22, s6
	v_cmp_ne_u32_e64 s6, 10, v65
	v_or_b32_sdwa v73, v76, v73 dst_sel:DWORD dst_unused:UNUSED_PAD src0_sel:BYTE_0 src1_sel:DWORD
	v_cndmask_b32_e64 v77, 8, v77, s6
	v_cmp_ne_u32_e64 s6, 5, v65
	v_or_b32_sdwa v74, v77, v74 dst_sel:WORD_1 dst_unused:UNUSED_PAD src0_sel:BYTE_0 src1_sel:DWORD
	v_cndmask_b32_e64 v78, 8, v78, s6
	v_cmp_ne_u32_e64 s6, 7, v65
	v_lshlrev_b16 v78, 8, v78
	v_cndmask_b32_e64 v79, 8, v79, s6
	v_cmp_ne_u32_e64 s6, 4, v65
	v_lshlrev_b16 v79, 8, v79
	v_cndmask_b32_e64 v81, 8, v21, s6
	v_cmp_ne_u32_e64 s6, 6, v65
	v_cndmask_b32_e64 v80, 8, v80, s6
	v_cmp_ne_u32_e64 s6, 14, v65
	v_or_b32_sdwa v76, v80, v79 dst_sel:WORD_1 dst_unused:UNUSED_PAD src0_sel:BYTE_0 src1_sel:DWORD
	v_cndmask_b32_e64 v65, 8, v75, s6
	v_cmp_ne_u32_e64 s6, 1, v63
	v_or_b32_sdwa v75, v81, v78 dst_sel:DWORD dst_unused:UNUSED_PAD src0_sel:BYTE_0 src1_sel:DWORD
	v_or_b32_sdwa v65, v65, v71 dst_sel:WORD_1 dst_unused:UNUSED_PAD src0_sel:BYTE_0 src1_sel:DWORD
	v_or_b32_sdwa v71, v73, v74 dst_sel:DWORD dst_unused:UNUSED_PAD src0_sel:WORD_0 src1_sel:DWORD
	v_or_b32_sdwa v69, v75, v76 dst_sel:DWORD dst_unused:UNUSED_PAD src0_sel:WORD_0 src1_sel:DWORD
	;; [unrolled: 1-line block ×4, first 2 shown]
	v_lshrrev_b32_e32 v67, 8, v20
	v_cndmask_b32_e32 v21, v69, v21, vcc_lo
	v_cndmask_b32_e32 v22, v71, v22, vcc_lo
	;; [unrolled: 1-line block ×3, first 2 shown]
	v_lshrrev_b32_e32 v41, 24, v20
	v_cndmask_b32_e64 v66, 9, v67, s6
	v_cmp_ne_u32_e64 s6, 3, v63
	v_lshrrev_b32_e32 v67, 16, v20
	v_cndmask_b32_e32 v24, v65, v24, vcc_lo
	v_lshrrev_b32_e32 v65, 8, v26
	v_lshlrev_b16 v66, 8, v66
	v_cndmask_b32_e64 v41, 9, v41, s6
	v_cmp_ne_u32_e64 s6, 0, v63
	v_cmp_ne_u32_e32 vcc_lo, 21, v63
	v_lshrrev_b32_e32 v69, 16, v26
	v_lshrrev_b32_e32 v70, 8, v24
	v_lshlrev_b16 v41, 8, v41
	v_cndmask_b32_e64 v68, 9, v20, s6
	v_cmp_ne_u32_e64 s6, 2, v63
	v_cndmask_b32_e32 v65, 9, v65, vcc_lo
	v_cmp_ne_u32_e32 vcc_lo, 23, v63
	v_lshrrev_b32_e32 v71, 8, v22
	v_or_b32_sdwa v66, v68, v66 dst_sel:DWORD dst_unused:UNUSED_PAD src0_sel:BYTE_0 src1_sel:DWORD
	v_cndmask_b32_e64 v67, 9, v67, s6
	v_lshrrev_b32_e32 v68, 24, v26
	v_lshlrev_b16 v65, 8, v65
	v_cmp_ne_u32_e64 s6, 18, v63
	v_lshrrev_b32_e32 v72, 24, v22
	v_or_b32_sdwa v41, v67, v41 dst_sel:WORD_1 dst_unused:UNUSED_PAD src0_sel:BYTE_0 src1_sel:DWORD
	v_cndmask_b32_e32 v67, 9, v68, vcc_lo
	v_cmp_ne_u32_e32 vcc_lo, 20, v63
	v_lshrrev_b32_e32 v75, 16, v22
	v_lshrrev_b32_e32 v76, 8, v21
	v_or_b32_sdwa v41, v66, v41 dst_sel:DWORD dst_unused:UNUSED_PAD src0_sel:WORD_0 src1_sel:DWORD
	v_lshlrev_b16 v67, 8, v67
	v_cndmask_b32_e32 v68, 9, v26, vcc_lo
	v_cmp_ne_u32_e32 vcc_lo, 22, v63
	v_lshrrev_b32_e32 v77, 24, v21
	v_lshrrev_b32_e32 v78, 16, v21
	;; [unrolled: 1-line block ×3, first 2 shown]
	v_or_b32_sdwa v65, v68, v65 dst_sel:DWORD dst_unused:UNUSED_PAD src0_sel:BYTE_0 src1_sel:DWORD
	v_cndmask_b32_e32 v69, 9, v69, vcc_lo
	v_cmp_ne_u32_e32 vcc_lo, 17, v63
	v_lshrrev_b32_e32 v68, 24, v24
	v_or_b32_sdwa v67, v69, v67 dst_sel:WORD_1 dst_unused:UNUSED_PAD src0_sel:BYTE_0 src1_sel:DWORD
	v_cndmask_b32_e32 v66, 9, v70, vcc_lo
	v_cmp_ne_u32_e32 vcc_lo, 16, v63
	v_lshlrev_b16 v66, 8, v66
	v_cndmask_b32_e32 v69, 9, v24, vcc_lo
	v_cmp_ne_u32_e32 vcc_lo, 19, v63
	v_cndmask_b32_e32 v68, 9, v68, vcc_lo
	v_cmp_eq_u32_e32 vcc_lo, 0, v64
	v_or_b32_sdwa v64, v65, v67 dst_sel:DWORD dst_unused:UNUSED_PAD src0_sel:WORD_0 src1_sel:DWORD
	v_or_b32_sdwa v65, v69, v66 dst_sel:DWORD dst_unused:UNUSED_PAD src0_sel:BYTE_0 src1_sel:DWORD
	v_lshrrev_b32_e32 v66, 16, v24
	v_lshlrev_b16 v67, 8, v68
	v_lshrrev_b32_e32 v68, 8, v23
	v_lshrrev_b32_e32 v69, 24, v23
	v_cndmask_b32_e32 v20, v41, v20, vcc_lo
	v_cndmask_b32_e64 v66, 9, v66, s6
	v_cmp_ne_u32_e64 s6, 13, v63
	v_cndmask_b32_e32 v26, v64, v26, vcc_lo
	v_or_b32_sdwa v66, v66, v67 dst_sel:WORD_1 dst_unused:UNUSED_PAD src0_sel:BYTE_0 src1_sel:DWORD
	v_cndmask_b32_e64 v68, 9, v68, s6
	v_cmp_ne_u32_e64 s6, 15, v63
	v_lshlrev_b16 v68, 8, v68
	v_cndmask_b32_e64 v69, 9, v69, s6
	v_cmp_ne_u32_e64 s6, 12, v63
	v_lshlrev_b16 v69, 8, v69
	v_cndmask_b32_e64 v70, 9, v23, s6
	v_cmp_ne_u32_e64 s6, 9, v63
	v_or_b32_sdwa v68, v70, v68 dst_sel:DWORD dst_unused:UNUSED_PAD src0_sel:BYTE_0 src1_sel:DWORD
	v_cndmask_b32_e64 v71, 9, v71, s6
	v_cmp_ne_u32_e64 s6, 11, v63
	v_lshlrev_b16 v71, 8, v71
	v_cndmask_b32_e64 v72, 9, v72, s6
	v_cmp_ne_u32_e64 s6, 8, v63
	v_lshlrev_b16 v72, 8, v72
	v_cndmask_b32_e64 v74, 9, v22, s6
	v_cmp_ne_u32_e64 s6, 10, v63
	v_or_b32_sdwa v71, v74, v71 dst_sel:DWORD dst_unused:UNUSED_PAD src0_sel:BYTE_0 src1_sel:DWORD
	v_cndmask_b32_e64 v75, 9, v75, s6
	v_cmp_ne_u32_e64 s6, 5, v63
	v_or_b32_sdwa v72, v75, v72 dst_sel:WORD_1 dst_unused:UNUSED_PAD src0_sel:BYTE_0 src1_sel:DWORD
	v_cndmask_b32_e64 v76, 9, v76, s6
	v_cmp_ne_u32_e64 s6, 7, v63
	v_lshlrev_b16 v76, 8, v76
	v_cndmask_b32_e64 v77, 9, v77, s6
	v_cmp_ne_u32_e64 s6, 4, v63
	v_lshlrev_b16 v77, 8, v77
	v_cndmask_b32_e64 v79, 9, v21, s6
	v_cmp_ne_u32_e64 s6, 6, v63
	v_cndmask_b32_e64 v78, 9, v78, s6
	v_cmp_ne_u32_e64 s6, 14, v63
	v_or_b32_sdwa v74, v78, v77 dst_sel:WORD_1 dst_unused:UNUSED_PAD src0_sel:BYTE_0 src1_sel:DWORD
	v_cndmask_b32_e64 v63, 9, v73, s6
	v_cmp_ne_u32_e64 s6, 1, v61
	v_or_b32_sdwa v73, v79, v76 dst_sel:DWORD dst_unused:UNUSED_PAD src0_sel:BYTE_0 src1_sel:DWORD
	v_or_b32_sdwa v63, v63, v69 dst_sel:WORD_1 dst_unused:UNUSED_PAD src0_sel:BYTE_0 src1_sel:DWORD
	v_or_b32_sdwa v69, v71, v72 dst_sel:DWORD dst_unused:UNUSED_PAD src0_sel:WORD_0 src1_sel:DWORD
	v_or_b32_sdwa v67, v73, v74 dst_sel:DWORD dst_unused:UNUSED_PAD src0_sel:WORD_0 src1_sel:DWORD
	;; [unrolled: 1-line block ×4, first 2 shown]
	v_lshrrev_b32_e32 v65, 8, v20
	v_cndmask_b32_e32 v21, v67, v21, vcc_lo
	v_cndmask_b32_e32 v22, v69, v22, vcc_lo
	;; [unrolled: 1-line block ×3, first 2 shown]
	v_lshrrev_b32_e32 v41, 24, v20
	v_cndmask_b32_e64 v64, 10, v65, s6
	v_cmp_ne_u32_e64 s6, 3, v61
	v_lshrrev_b32_e32 v65, 16, v20
	v_cndmask_b32_e32 v24, v63, v24, vcc_lo
	v_lshrrev_b32_e32 v63, 8, v26
	v_lshlrev_b16 v64, 8, v64
	v_cndmask_b32_e64 v41, 10, v41, s6
	v_cmp_ne_u32_e64 s6, 0, v61
	v_cmp_ne_u32_e32 vcc_lo, 21, v61
	v_lshrrev_b32_e32 v67, 16, v26
	v_lshrrev_b32_e32 v68, 8, v24
	v_lshlrev_b16 v41, 8, v41
	v_cndmask_b32_e64 v66, 10, v20, s6
	v_cmp_ne_u32_e64 s6, 2, v61
	v_cndmask_b32_e32 v63, 10, v63, vcc_lo
	v_cmp_ne_u32_e32 vcc_lo, 23, v61
	v_lshrrev_b32_e32 v69, 8, v22
	v_or_b32_sdwa v64, v66, v64 dst_sel:DWORD dst_unused:UNUSED_PAD src0_sel:BYTE_0 src1_sel:DWORD
	v_cndmask_b32_e64 v65, 10, v65, s6
	v_lshrrev_b32_e32 v66, 24, v26
	v_lshlrev_b16 v63, 8, v63
	v_cmp_ne_u32_e64 s6, 18, v61
	v_lshrrev_b32_e32 v70, 24, v22
	v_or_b32_sdwa v41, v65, v41 dst_sel:WORD_1 dst_unused:UNUSED_PAD src0_sel:BYTE_0 src1_sel:DWORD
	v_cndmask_b32_e32 v65, 10, v66, vcc_lo
	v_cmp_ne_u32_e32 vcc_lo, 20, v61
	v_lshrrev_b32_e32 v73, 16, v22
	v_lshrrev_b32_e32 v74, 8, v21
	v_or_b32_sdwa v41, v64, v41 dst_sel:DWORD dst_unused:UNUSED_PAD src0_sel:WORD_0 src1_sel:DWORD
	v_lshlrev_b16 v65, 8, v65
	v_cndmask_b32_e32 v66, 10, v26, vcc_lo
	v_cmp_ne_u32_e32 vcc_lo, 22, v61
	v_lshrrev_b32_e32 v75, 24, v21
	v_lshrrev_b32_e32 v76, 16, v21
	;; [unrolled: 1-line block ×3, first 2 shown]
	v_or_b32_sdwa v63, v66, v63 dst_sel:DWORD dst_unused:UNUSED_PAD src0_sel:BYTE_0 src1_sel:DWORD
	v_cndmask_b32_e32 v67, 10, v67, vcc_lo
	v_cmp_ne_u32_e32 vcc_lo, 17, v61
	v_lshrrev_b32_e32 v66, 24, v24
	v_or_b32_sdwa v65, v67, v65 dst_sel:WORD_1 dst_unused:UNUSED_PAD src0_sel:BYTE_0 src1_sel:DWORD
	v_cndmask_b32_e32 v64, 10, v68, vcc_lo
	v_cmp_ne_u32_e32 vcc_lo, 16, v61
	v_lshlrev_b16 v64, 8, v64
	v_cndmask_b32_e32 v67, 10, v24, vcc_lo
	v_cmp_ne_u32_e32 vcc_lo, 19, v61
	v_cndmask_b32_e32 v66, 10, v66, vcc_lo
	v_cmp_eq_u32_e32 vcc_lo, 0, v62
	v_or_b32_sdwa v62, v63, v65 dst_sel:DWORD dst_unused:UNUSED_PAD src0_sel:WORD_0 src1_sel:DWORD
	v_or_b32_sdwa v63, v67, v64 dst_sel:DWORD dst_unused:UNUSED_PAD src0_sel:BYTE_0 src1_sel:DWORD
	v_lshrrev_b32_e32 v64, 16, v24
	v_lshlrev_b16 v65, 8, v66
	v_lshrrev_b32_e32 v66, 8, v23
	v_lshrrev_b32_e32 v67, 24, v23
	v_cndmask_b32_e32 v20, v41, v20, vcc_lo
	v_cndmask_b32_e64 v64, 10, v64, s6
	v_cmp_ne_u32_e64 s6, 13, v61
	v_cndmask_b32_e32 v26, v62, v26, vcc_lo
	v_or_b32_sdwa v64, v64, v65 dst_sel:WORD_1 dst_unused:UNUSED_PAD src0_sel:BYTE_0 src1_sel:DWORD
	v_cndmask_b32_e64 v66, 10, v66, s6
	v_cmp_ne_u32_e64 s6, 15, v61
	v_lshlrev_b16 v66, 8, v66
	v_cndmask_b32_e64 v67, 10, v67, s6
	v_cmp_ne_u32_e64 s6, 12, v61
	v_lshlrev_b16 v67, 8, v67
	v_cndmask_b32_e64 v68, 10, v23, s6
	v_cmp_ne_u32_e64 s6, 9, v61
	v_or_b32_sdwa v66, v68, v66 dst_sel:DWORD dst_unused:UNUSED_PAD src0_sel:BYTE_0 src1_sel:DWORD
	v_cndmask_b32_e64 v69, 10, v69, s6
	v_cmp_ne_u32_e64 s6, 11, v61
	v_lshlrev_b16 v69, 8, v69
	v_cndmask_b32_e64 v70, 10, v70, s6
	v_cmp_ne_u32_e64 s6, 8, v61
	v_lshlrev_b16 v70, 8, v70
	v_cndmask_b32_e64 v72, 10, v22, s6
	v_cmp_ne_u32_e64 s6, 10, v61
	v_or_b32_sdwa v69, v72, v69 dst_sel:DWORD dst_unused:UNUSED_PAD src0_sel:BYTE_0 src1_sel:DWORD
	v_cndmask_b32_e64 v73, 10, v73, s6
	v_cmp_ne_u32_e64 s6, 5, v61
	v_or_b32_sdwa v70, v73, v70 dst_sel:WORD_1 dst_unused:UNUSED_PAD src0_sel:BYTE_0 src1_sel:DWORD
	v_cndmask_b32_e64 v74, 10, v74, s6
	v_cmp_ne_u32_e64 s6, 7, v61
	v_lshlrev_b16 v74, 8, v74
	v_cndmask_b32_e64 v75, 10, v75, s6
	v_cmp_ne_u32_e64 s6, 4, v61
	v_lshlrev_b16 v75, 8, v75
	v_cndmask_b32_e64 v77, 10, v21, s6
	v_cmp_ne_u32_e64 s6, 6, v61
	v_cndmask_b32_e64 v76, 10, v76, s6
	v_cmp_ne_u32_e64 s6, 14, v61
	v_or_b32_sdwa v72, v76, v75 dst_sel:WORD_1 dst_unused:UNUSED_PAD src0_sel:BYTE_0 src1_sel:DWORD
	v_cndmask_b32_e64 v61, 10, v71, s6
	v_cmp_ne_u32_e64 s6, 1, v59
	v_or_b32_sdwa v71, v77, v74 dst_sel:DWORD dst_unused:UNUSED_PAD src0_sel:BYTE_0 src1_sel:DWORD
	v_or_b32_sdwa v61, v61, v67 dst_sel:WORD_1 dst_unused:UNUSED_PAD src0_sel:BYTE_0 src1_sel:DWORD
	v_or_b32_sdwa v67, v69, v70 dst_sel:DWORD dst_unused:UNUSED_PAD src0_sel:WORD_0 src1_sel:DWORD
	v_or_b32_sdwa v65, v71, v72 dst_sel:DWORD dst_unused:UNUSED_PAD src0_sel:WORD_0 src1_sel:DWORD
	v_or_b32_sdwa v41, v66, v61 dst_sel:DWORD dst_unused:UNUSED_PAD src0_sel:WORD_0 src1_sel:DWORD
	v_or_b32_sdwa v61, v63, v64 dst_sel:DWORD dst_unused:UNUSED_PAD src0_sel:WORD_0 src1_sel:DWORD
	v_lshrrev_b32_e32 v63, 8, v20
	v_cndmask_b32_e32 v21, v65, v21, vcc_lo
	v_cndmask_b32_e32 v22, v67, v22, vcc_lo
	;; [unrolled: 1-line block ×3, first 2 shown]
	v_lshrrev_b32_e32 v41, 24, v20
	v_cndmask_b32_e64 v62, 11, v63, s6
	v_cmp_ne_u32_e64 s6, 3, v59
	v_lshrrev_b32_e32 v63, 16, v20
	v_cndmask_b32_e32 v24, v61, v24, vcc_lo
	v_lshrrev_b32_e32 v61, 8, v26
	v_lshlrev_b16 v62, 8, v62
	v_cndmask_b32_e64 v41, 11, v41, s6
	v_cmp_ne_u32_e64 s6, 0, v59
	v_cmp_ne_u32_e32 vcc_lo, 21, v59
	v_lshrrev_b32_e32 v65, 16, v26
	v_lshrrev_b32_e32 v66, 8, v24
	v_lshlrev_b16 v41, 8, v41
	v_cndmask_b32_e64 v64, 11, v20, s6
	v_cmp_ne_u32_e64 s6, 2, v59
	v_cndmask_b32_e32 v61, 11, v61, vcc_lo
	v_cmp_ne_u32_e32 vcc_lo, 23, v59
	v_lshrrev_b32_e32 v67, 8, v22
	v_or_b32_sdwa v62, v64, v62 dst_sel:DWORD dst_unused:UNUSED_PAD src0_sel:BYTE_0 src1_sel:DWORD
	v_cndmask_b32_e64 v63, 11, v63, s6
	v_lshrrev_b32_e32 v64, 24, v26
	v_lshlrev_b16 v61, 8, v61
	v_cmp_ne_u32_e64 s6, 18, v59
	v_lshrrev_b32_e32 v68, 24, v22
	v_or_b32_sdwa v41, v63, v41 dst_sel:WORD_1 dst_unused:UNUSED_PAD src0_sel:BYTE_0 src1_sel:DWORD
	v_cndmask_b32_e32 v63, 11, v64, vcc_lo
	v_cmp_ne_u32_e32 vcc_lo, 20, v59
	v_lshrrev_b32_e32 v71, 16, v22
	v_lshrrev_b32_e32 v72, 8, v21
	v_or_b32_sdwa v41, v62, v41 dst_sel:DWORD dst_unused:UNUSED_PAD src0_sel:WORD_0 src1_sel:DWORD
	v_lshlrev_b16 v63, 8, v63
	v_cndmask_b32_e32 v64, 11, v26, vcc_lo
	v_cmp_ne_u32_e32 vcc_lo, 22, v59
	v_lshrrev_b32_e32 v73, 24, v21
	v_lshrrev_b32_e32 v74, 16, v21
	;; [unrolled: 1-line block ×3, first 2 shown]
	v_or_b32_sdwa v61, v64, v61 dst_sel:DWORD dst_unused:UNUSED_PAD src0_sel:BYTE_0 src1_sel:DWORD
	v_cndmask_b32_e32 v65, 11, v65, vcc_lo
	v_cmp_ne_u32_e32 vcc_lo, 17, v59
	v_lshrrev_b32_e32 v64, 24, v24
	v_or_b32_sdwa v63, v65, v63 dst_sel:WORD_1 dst_unused:UNUSED_PAD src0_sel:BYTE_0 src1_sel:DWORD
	v_cndmask_b32_e32 v62, 11, v66, vcc_lo
	v_cmp_ne_u32_e32 vcc_lo, 16, v59
	v_lshlrev_b16 v62, 8, v62
	v_cndmask_b32_e32 v65, 11, v24, vcc_lo
	v_cmp_ne_u32_e32 vcc_lo, 19, v59
	v_cndmask_b32_e32 v64, 11, v64, vcc_lo
	v_cmp_eq_u32_e32 vcc_lo, 0, v60
	v_or_b32_sdwa v60, v61, v63 dst_sel:DWORD dst_unused:UNUSED_PAD src0_sel:WORD_0 src1_sel:DWORD
	v_or_b32_sdwa v61, v65, v62 dst_sel:DWORD dst_unused:UNUSED_PAD src0_sel:BYTE_0 src1_sel:DWORD
	v_lshrrev_b32_e32 v62, 16, v24
	v_lshlrev_b16 v63, 8, v64
	v_lshrrev_b32_e32 v64, 8, v23
	v_lshrrev_b32_e32 v65, 24, v23
	v_cndmask_b32_e32 v20, v41, v20, vcc_lo
	v_cndmask_b32_e64 v62, 11, v62, s6
	v_cmp_ne_u32_e64 s6, 13, v59
	v_cndmask_b32_e32 v26, v60, v26, vcc_lo
	v_or_b32_sdwa v62, v62, v63 dst_sel:WORD_1 dst_unused:UNUSED_PAD src0_sel:BYTE_0 src1_sel:DWORD
	v_cndmask_b32_e64 v64, 11, v64, s6
	v_cmp_ne_u32_e64 s6, 15, v59
	v_lshlrev_b16 v64, 8, v64
	v_cndmask_b32_e64 v65, 11, v65, s6
	v_cmp_ne_u32_e64 s6, 12, v59
	v_lshlrev_b16 v65, 8, v65
	v_cndmask_b32_e64 v66, 11, v23, s6
	v_cmp_ne_u32_e64 s6, 9, v59
	v_or_b32_sdwa v64, v66, v64 dst_sel:DWORD dst_unused:UNUSED_PAD src0_sel:BYTE_0 src1_sel:DWORD
	v_cndmask_b32_e64 v67, 11, v67, s6
	v_cmp_ne_u32_e64 s6, 11, v59
	v_lshlrev_b16 v67, 8, v67
	v_cndmask_b32_e64 v68, 11, v68, s6
	v_cmp_ne_u32_e64 s6, 8, v59
	v_lshlrev_b16 v68, 8, v68
	v_cndmask_b32_e64 v70, 11, v22, s6
	v_cmp_ne_u32_e64 s6, 10, v59
	v_or_b32_sdwa v67, v70, v67 dst_sel:DWORD dst_unused:UNUSED_PAD src0_sel:BYTE_0 src1_sel:DWORD
	v_cndmask_b32_e64 v71, 11, v71, s6
	v_cmp_ne_u32_e64 s6, 5, v59
	v_or_b32_sdwa v68, v71, v68 dst_sel:WORD_1 dst_unused:UNUSED_PAD src0_sel:BYTE_0 src1_sel:DWORD
	v_cndmask_b32_e64 v72, 11, v72, s6
	v_cmp_ne_u32_e64 s6, 7, v59
	v_lshlrev_b16 v72, 8, v72
	v_cndmask_b32_e64 v73, 11, v73, s6
	v_cmp_ne_u32_e64 s6, 4, v59
	v_lshlrev_b16 v73, 8, v73
	v_cndmask_b32_e64 v75, 11, v21, s6
	v_cmp_ne_u32_e64 s6, 6, v59
	v_cndmask_b32_e64 v74, 11, v74, s6
	v_cmp_ne_u32_e64 s6, 14, v59
	v_or_b32_sdwa v70, v74, v73 dst_sel:WORD_1 dst_unused:UNUSED_PAD src0_sel:BYTE_0 src1_sel:DWORD
	v_cndmask_b32_e64 v59, 11, v69, s6
	v_cmp_ne_u32_e64 s6, 1, v57
	v_or_b32_sdwa v69, v75, v72 dst_sel:DWORD dst_unused:UNUSED_PAD src0_sel:BYTE_0 src1_sel:DWORD
	v_mov_b32_e32 v74, 3
	v_or_b32_sdwa v59, v59, v65 dst_sel:WORD_1 dst_unused:UNUSED_PAD src0_sel:BYTE_0 src1_sel:DWORD
	v_or_b32_sdwa v65, v67, v68 dst_sel:DWORD dst_unused:UNUSED_PAD src0_sel:WORD_0 src1_sel:DWORD
	v_or_b32_sdwa v63, v69, v70 dst_sel:DWORD dst_unused:UNUSED_PAD src0_sel:WORD_0 src1_sel:DWORD
	;; [unrolled: 1-line block ×4, first 2 shown]
	v_lshrrev_b32_e32 v61, 8, v20
	v_cndmask_b32_e32 v21, v63, v21, vcc_lo
	v_cndmask_b32_e32 v22, v65, v22, vcc_lo
	;; [unrolled: 1-line block ×3, first 2 shown]
	v_lshrrev_b32_e32 v41, 24, v20
	v_cndmask_b32_e64 v60, 12, v61, s6
	v_cmp_ne_u32_e64 s6, 3, v57
	v_lshrrev_b32_e32 v61, 16, v20
	v_cndmask_b32_e32 v24, v59, v24, vcc_lo
	v_lshrrev_b32_e32 v59, 8, v26
	v_lshlrev_b16 v60, 8, v60
	v_cndmask_b32_e64 v41, 12, v41, s6
	v_cmp_ne_u32_e64 s6, 0, v57
	v_cmp_ne_u32_e32 vcc_lo, 21, v57
	v_lshrrev_b32_e32 v63, 16, v26
	v_lshrrev_b32_e32 v64, 8, v24
	v_lshlrev_b16 v41, 8, v41
	v_cndmask_b32_e64 v62, 12, v20, s6
	v_cmp_ne_u32_e64 s6, 2, v57
	v_cndmask_b32_e32 v59, 12, v59, vcc_lo
	v_cmp_ne_u32_e32 vcc_lo, 23, v57
	v_lshrrev_b32_e32 v65, 8, v22
	v_or_b32_sdwa v60, v62, v60 dst_sel:DWORD dst_unused:UNUSED_PAD src0_sel:BYTE_0 src1_sel:DWORD
	v_cndmask_b32_e64 v61, 12, v61, s6
	v_lshrrev_b32_e32 v62, 24, v26
	v_lshlrev_b16 v59, 8, v59
	v_cmp_ne_u32_e64 s6, 18, v57
	v_lshrrev_b32_e32 v66, 24, v22
	v_or_b32_sdwa v41, v61, v41 dst_sel:WORD_1 dst_unused:UNUSED_PAD src0_sel:BYTE_0 src1_sel:DWORD
	v_cndmask_b32_e32 v61, 12, v62, vcc_lo
	v_cmp_ne_u32_e32 vcc_lo, 20, v57
	v_lshrrev_b32_e32 v69, 16, v22
	v_lshrrev_b32_e32 v70, 8, v21
	v_or_b32_sdwa v41, v60, v41 dst_sel:DWORD dst_unused:UNUSED_PAD src0_sel:WORD_0 src1_sel:DWORD
	v_lshlrev_b16 v61, 8, v61
	v_cndmask_b32_e32 v62, 12, v26, vcc_lo
	v_cmp_ne_u32_e32 vcc_lo, 22, v57
	v_lshrrev_b32_e32 v71, 24, v21
	v_lshrrev_b32_e32 v72, 16, v21
	;; [unrolled: 1-line block ×3, first 2 shown]
	v_or_b32_sdwa v59, v62, v59 dst_sel:DWORD dst_unused:UNUSED_PAD src0_sel:BYTE_0 src1_sel:DWORD
	v_cndmask_b32_e32 v63, 12, v63, vcc_lo
	v_cmp_ne_u32_e32 vcc_lo, 17, v57
	v_lshrrev_b32_e32 v62, 24, v24
	v_or_b32_sdwa v61, v63, v61 dst_sel:WORD_1 dst_unused:UNUSED_PAD src0_sel:BYTE_0 src1_sel:DWORD
	v_cndmask_b32_e32 v60, 12, v64, vcc_lo
	v_cmp_ne_u32_e32 vcc_lo, 16, v57
	v_lshlrev_b16 v60, 8, v60
	v_cndmask_b32_e32 v63, 12, v24, vcc_lo
	v_cmp_ne_u32_e32 vcc_lo, 19, v57
	v_cndmask_b32_e32 v62, 12, v62, vcc_lo
	v_cmp_eq_u32_e32 vcc_lo, 0, v58
	v_or_b32_sdwa v58, v59, v61 dst_sel:DWORD dst_unused:UNUSED_PAD src0_sel:WORD_0 src1_sel:DWORD
	v_or_b32_sdwa v59, v63, v60 dst_sel:DWORD dst_unused:UNUSED_PAD src0_sel:BYTE_0 src1_sel:DWORD
	v_lshrrev_b32_e32 v60, 16, v24
	v_lshlrev_b16 v61, 8, v62
	v_lshrrev_b32_e32 v62, 8, v23
	v_lshrrev_b32_e32 v63, 24, v23
	v_cndmask_b32_e32 v20, v41, v20, vcc_lo
	v_cndmask_b32_e64 v60, 12, v60, s6
	v_cmp_ne_u32_e64 s6, 13, v57
	v_cndmask_b32_e32 v26, v58, v26, vcc_lo
	v_or_b32_sdwa v60, v60, v61 dst_sel:WORD_1 dst_unused:UNUSED_PAD src0_sel:BYTE_0 src1_sel:DWORD
	v_cndmask_b32_e64 v62, 12, v62, s6
	v_cmp_ne_u32_e64 s6, 15, v57
	v_lshlrev_b16 v62, 8, v62
	v_cndmask_b32_e64 v63, 12, v63, s6
	v_cmp_ne_u32_e64 s6, 12, v57
	v_lshlrev_b16 v63, 8, v63
	v_cndmask_b32_e64 v64, 12, v23, s6
	v_cmp_ne_u32_e64 s6, 9, v57
	v_or_b32_sdwa v62, v64, v62 dst_sel:DWORD dst_unused:UNUSED_PAD src0_sel:BYTE_0 src1_sel:DWORD
	v_cndmask_b32_e64 v65, 12, v65, s6
	v_cmp_ne_u32_e64 s6, 11, v57
	v_lshlrev_b16 v65, 8, v65
	v_cndmask_b32_e64 v66, 12, v66, s6
	v_cmp_ne_u32_e64 s6, 8, v57
	v_lshlrev_b16 v66, 8, v66
	v_cndmask_b32_e64 v68, 12, v22, s6
	v_cmp_ne_u32_e64 s6, 10, v57
	v_or_b32_sdwa v65, v68, v65 dst_sel:DWORD dst_unused:UNUSED_PAD src0_sel:BYTE_0 src1_sel:DWORD
	v_cndmask_b32_e64 v69, 12, v69, s6
	v_cmp_ne_u32_e64 s6, 5, v57
	v_or_b32_sdwa v66, v69, v66 dst_sel:WORD_1 dst_unused:UNUSED_PAD src0_sel:BYTE_0 src1_sel:DWORD
	v_cndmask_b32_e64 v70, 12, v70, s6
	v_cmp_ne_u32_e64 s6, 7, v57
	v_lshlrev_b16 v70, 8, v70
	v_cndmask_b32_e64 v71, 12, v71, s6
	v_cmp_ne_u32_e64 s6, 4, v57
	v_lshlrev_b16 v71, 8, v71
	v_cndmask_b32_e64 v73, 12, v21, s6
	v_cmp_ne_u32_e64 s6, 6, v57
	v_cndmask_b32_e64 v72, 12, v72, s6
	v_cmp_ne_u32_e64 s6, 14, v57
	v_or_b32_sdwa v68, v72, v71 dst_sel:WORD_1 dst_unused:UNUSED_PAD src0_sel:BYTE_0 src1_sel:DWORD
	v_cndmask_b32_e64 v57, 12, v67, s6
	v_cmp_ne_u32_e64 s6, 1, v55
	v_or_b32_sdwa v67, v73, v70 dst_sel:DWORD dst_unused:UNUSED_PAD src0_sel:BYTE_0 src1_sel:DWORD
	v_or_b32_sdwa v57, v57, v63 dst_sel:WORD_1 dst_unused:UNUSED_PAD src0_sel:BYTE_0 src1_sel:DWORD
	v_or_b32_sdwa v63, v65, v66 dst_sel:DWORD dst_unused:UNUSED_PAD src0_sel:WORD_0 src1_sel:DWORD
	v_or_b32_sdwa v61, v67, v68 dst_sel:DWORD dst_unused:UNUSED_PAD src0_sel:WORD_0 src1_sel:DWORD
	v_or_b32_sdwa v41, v62, v57 dst_sel:DWORD dst_unused:UNUSED_PAD src0_sel:WORD_0 src1_sel:DWORD
	v_or_b32_sdwa v57, v59, v60 dst_sel:DWORD dst_unused:UNUSED_PAD src0_sel:WORD_0 src1_sel:DWORD
	v_lshrrev_b32_e32 v59, 8, v20
	v_cndmask_b32_e32 v21, v61, v21, vcc_lo
	v_cndmask_b32_e32 v22, v63, v22, vcc_lo
	;; [unrolled: 1-line block ×3, first 2 shown]
	v_lshrrev_b32_e32 v41, 24, v20
	v_cndmask_b32_e64 v58, 13, v59, s6
	v_cmp_ne_u32_e64 s6, 3, v55
	v_lshrrev_b32_e32 v59, 16, v20
	v_cndmask_b32_e32 v24, v57, v24, vcc_lo
	v_lshrrev_b32_e32 v57, 8, v26
	v_lshlrev_b16 v58, 8, v58
	v_cndmask_b32_e64 v41, 13, v41, s6
	v_cmp_ne_u32_e64 s6, 0, v55
	v_cmp_ne_u32_e32 vcc_lo, 21, v55
	v_lshrrev_b32_e32 v61, 16, v26
	v_lshrrev_b32_e32 v62, 8, v24
	v_lshlrev_b16 v41, 8, v41
	v_cndmask_b32_e64 v60, 13, v20, s6
	v_cmp_ne_u32_e64 s6, 2, v55
	v_cndmask_b32_e32 v57, 13, v57, vcc_lo
	v_cmp_ne_u32_e32 vcc_lo, 23, v55
	v_lshrrev_b32_e32 v63, 8, v22
	v_or_b32_sdwa v58, v60, v58 dst_sel:DWORD dst_unused:UNUSED_PAD src0_sel:BYTE_0 src1_sel:DWORD
	v_cndmask_b32_e64 v59, 13, v59, s6
	v_lshrrev_b32_e32 v60, 24, v26
	v_lshlrev_b16 v57, 8, v57
	v_cmp_ne_u32_e64 s6, 18, v55
	v_lshrrev_b32_e32 v64, 24, v22
	v_or_b32_sdwa v41, v59, v41 dst_sel:WORD_1 dst_unused:UNUSED_PAD src0_sel:BYTE_0 src1_sel:DWORD
	v_cndmask_b32_e32 v59, 13, v60, vcc_lo
	v_cmp_ne_u32_e32 vcc_lo, 20, v55
	v_lshrrev_b32_e32 v67, 16, v22
	v_lshrrev_b32_e32 v68, 8, v21
	v_or_b32_sdwa v41, v58, v41 dst_sel:DWORD dst_unused:UNUSED_PAD src0_sel:WORD_0 src1_sel:DWORD
	v_lshlrev_b16 v59, 8, v59
	v_cndmask_b32_e32 v60, 13, v26, vcc_lo
	v_cmp_ne_u32_e32 vcc_lo, 22, v55
	v_lshrrev_b32_e32 v69, 24, v21
	v_lshrrev_b32_e32 v70, 16, v21
	;; [unrolled: 1-line block ×3, first 2 shown]
	v_or_b32_sdwa v57, v60, v57 dst_sel:DWORD dst_unused:UNUSED_PAD src0_sel:BYTE_0 src1_sel:DWORD
	v_cndmask_b32_e32 v61, 13, v61, vcc_lo
	v_cmp_ne_u32_e32 vcc_lo, 17, v55
	v_lshrrev_b32_e32 v60, 24, v24
	v_or_b32_sdwa v59, v61, v59 dst_sel:WORD_1 dst_unused:UNUSED_PAD src0_sel:BYTE_0 src1_sel:DWORD
	v_cndmask_b32_e32 v58, 13, v62, vcc_lo
	v_cmp_ne_u32_e32 vcc_lo, 16, v55
	v_lshlrev_b16 v58, 8, v58
	v_cndmask_b32_e32 v61, 13, v24, vcc_lo
	v_cmp_ne_u32_e32 vcc_lo, 19, v55
	v_cndmask_b32_e32 v60, 13, v60, vcc_lo
	v_cmp_eq_u32_e32 vcc_lo, 0, v56
	v_or_b32_sdwa v56, v57, v59 dst_sel:DWORD dst_unused:UNUSED_PAD src0_sel:WORD_0 src1_sel:DWORD
	v_or_b32_sdwa v57, v61, v58 dst_sel:DWORD dst_unused:UNUSED_PAD src0_sel:BYTE_0 src1_sel:DWORD
	v_lshrrev_b32_e32 v58, 16, v24
	v_lshlrev_b16 v59, 8, v60
	v_lshrrev_b32_e32 v60, 8, v23
	v_lshrrev_b32_e32 v61, 24, v23
	v_cndmask_b32_e32 v20, v41, v20, vcc_lo
	v_cndmask_b32_e64 v58, 13, v58, s6
	v_cmp_ne_u32_e64 s6, 13, v55
	v_cndmask_b32_e32 v26, v56, v26, vcc_lo
	v_or_b32_sdwa v58, v58, v59 dst_sel:WORD_1 dst_unused:UNUSED_PAD src0_sel:BYTE_0 src1_sel:DWORD
	v_cndmask_b32_e64 v60, 13, v60, s6
	v_cmp_ne_u32_e64 s6, 15, v55
	v_lshlrev_b16 v60, 8, v60
	v_cndmask_b32_e64 v61, 13, v61, s6
	v_cmp_ne_u32_e64 s6, 12, v55
	v_lshlrev_b16 v61, 8, v61
	v_cndmask_b32_e64 v62, 13, v23, s6
	v_cmp_ne_u32_e64 s6, 9, v55
	v_or_b32_sdwa v60, v62, v60 dst_sel:DWORD dst_unused:UNUSED_PAD src0_sel:BYTE_0 src1_sel:DWORD
	v_cndmask_b32_e64 v63, 13, v63, s6
	v_cmp_ne_u32_e64 s6, 11, v55
	v_lshlrev_b16 v63, 8, v63
	v_cndmask_b32_e64 v64, 13, v64, s6
	v_cmp_ne_u32_e64 s6, 8, v55
	v_lshlrev_b16 v64, 8, v64
	v_cndmask_b32_e64 v66, 13, v22, s6
	v_cmp_ne_u32_e64 s6, 10, v55
	v_or_b32_sdwa v63, v66, v63 dst_sel:DWORD dst_unused:UNUSED_PAD src0_sel:BYTE_0 src1_sel:DWORD
	v_cndmask_b32_e64 v67, 13, v67, s6
	v_cmp_ne_u32_e64 s6, 5, v55
	v_or_b32_sdwa v64, v67, v64 dst_sel:WORD_1 dst_unused:UNUSED_PAD src0_sel:BYTE_0 src1_sel:DWORD
	v_cndmask_b32_e64 v68, 13, v68, s6
	v_cmp_ne_u32_e64 s6, 7, v55
	v_lshlrev_b16 v68, 8, v68
	v_cndmask_b32_e64 v69, 13, v69, s6
	v_cmp_ne_u32_e64 s6, 4, v55
	v_lshlrev_b16 v69, 8, v69
	v_cndmask_b32_e64 v71, 13, v21, s6
	v_cmp_ne_u32_e64 s6, 6, v55
	v_cndmask_b32_e64 v70, 13, v70, s6
	v_cmp_ne_u32_e64 s6, 14, v55
	v_or_b32_sdwa v66, v70, v69 dst_sel:WORD_1 dst_unused:UNUSED_PAD src0_sel:BYTE_0 src1_sel:DWORD
	v_cndmask_b32_e64 v55, 13, v65, s6
	v_cmp_ne_u32_e64 s6, 1, v53
	v_or_b32_sdwa v65, v71, v68 dst_sel:DWORD dst_unused:UNUSED_PAD src0_sel:BYTE_0 src1_sel:DWORD
	v_or_b32_sdwa v55, v55, v61 dst_sel:WORD_1 dst_unused:UNUSED_PAD src0_sel:BYTE_0 src1_sel:DWORD
	v_or_b32_sdwa v61, v63, v64 dst_sel:DWORD dst_unused:UNUSED_PAD src0_sel:WORD_0 src1_sel:DWORD
	v_or_b32_sdwa v59, v65, v66 dst_sel:DWORD dst_unused:UNUSED_PAD src0_sel:WORD_0 src1_sel:DWORD
	;; [unrolled: 1-line block ×4, first 2 shown]
	v_lshrrev_b32_e32 v57, 8, v20
	v_cndmask_b32_e32 v21, v59, v21, vcc_lo
	v_cndmask_b32_e32 v22, v61, v22, vcc_lo
	;; [unrolled: 1-line block ×3, first 2 shown]
	v_lshrrev_b32_e32 v41, 24, v20
	v_cndmask_b32_e64 v56, 14, v57, s6
	v_cmp_ne_u32_e64 s6, 3, v53
	v_lshrrev_b32_e32 v57, 16, v20
	v_cndmask_b32_e32 v24, v55, v24, vcc_lo
	v_lshrrev_b32_e32 v55, 8, v26
	v_lshlrev_b16 v56, 8, v56
	v_cndmask_b32_e64 v41, 14, v41, s6
	v_cmp_ne_u32_e64 s6, 0, v53
	v_cmp_ne_u32_e32 vcc_lo, 21, v53
	v_lshrrev_b32_e32 v59, 16, v26
	v_lshrrev_b32_e32 v60, 8, v24
	v_lshlrev_b16 v41, 8, v41
	v_cndmask_b32_e64 v58, 14, v20, s6
	v_cmp_ne_u32_e64 s6, 2, v53
	v_cndmask_b32_e32 v55, 14, v55, vcc_lo
	v_cmp_ne_u32_e32 vcc_lo, 23, v53
	v_lshrrev_b32_e32 v61, 8, v22
	v_or_b32_sdwa v56, v58, v56 dst_sel:DWORD dst_unused:UNUSED_PAD src0_sel:BYTE_0 src1_sel:DWORD
	v_cndmask_b32_e64 v57, 14, v57, s6
	v_lshrrev_b32_e32 v58, 24, v26
	v_lshlrev_b16 v55, 8, v55
	v_cmp_ne_u32_e64 s6, 18, v53
	v_lshrrev_b32_e32 v62, 24, v22
	v_or_b32_sdwa v41, v57, v41 dst_sel:WORD_1 dst_unused:UNUSED_PAD src0_sel:BYTE_0 src1_sel:DWORD
	v_cndmask_b32_e32 v57, 14, v58, vcc_lo
	v_cmp_ne_u32_e32 vcc_lo, 20, v53
	v_lshrrev_b32_e32 v65, 16, v22
	v_lshrrev_b32_e32 v66, 8, v21
	v_or_b32_sdwa v41, v56, v41 dst_sel:DWORD dst_unused:UNUSED_PAD src0_sel:WORD_0 src1_sel:DWORD
	v_lshlrev_b16 v57, 8, v57
	v_cndmask_b32_e32 v58, 14, v26, vcc_lo
	v_cmp_ne_u32_e32 vcc_lo, 22, v53
	v_lshrrev_b32_e32 v67, 24, v21
	v_lshrrev_b32_e32 v68, 16, v21
	;; [unrolled: 1-line block ×3, first 2 shown]
	v_or_b32_sdwa v55, v58, v55 dst_sel:DWORD dst_unused:UNUSED_PAD src0_sel:BYTE_0 src1_sel:DWORD
	v_cndmask_b32_e32 v59, 14, v59, vcc_lo
	v_cmp_ne_u32_e32 vcc_lo, 17, v53
	v_lshrrev_b32_e32 v58, 24, v24
	v_or_b32_sdwa v57, v59, v57 dst_sel:WORD_1 dst_unused:UNUSED_PAD src0_sel:BYTE_0 src1_sel:DWORD
	v_cndmask_b32_e32 v56, 14, v60, vcc_lo
	v_cmp_ne_u32_e32 vcc_lo, 16, v53
	v_lshlrev_b16 v56, 8, v56
	v_cndmask_b32_e32 v59, 14, v24, vcc_lo
	v_cmp_ne_u32_e32 vcc_lo, 19, v53
	v_cndmask_b32_e32 v58, 14, v58, vcc_lo
	v_cmp_eq_u32_e32 vcc_lo, 0, v54
	v_or_b32_sdwa v54, v55, v57 dst_sel:DWORD dst_unused:UNUSED_PAD src0_sel:WORD_0 src1_sel:DWORD
	v_or_b32_sdwa v55, v59, v56 dst_sel:DWORD dst_unused:UNUSED_PAD src0_sel:BYTE_0 src1_sel:DWORD
	v_lshrrev_b32_e32 v56, 16, v24
	v_lshlrev_b16 v57, 8, v58
	v_lshrrev_b32_e32 v58, 8, v23
	v_lshrrev_b32_e32 v59, 24, v23
	v_cndmask_b32_e32 v20, v41, v20, vcc_lo
	v_cndmask_b32_e64 v56, 14, v56, s6
	v_cmp_ne_u32_e64 s6, 13, v53
	v_cndmask_b32_e32 v26, v54, v26, vcc_lo
	v_or_b32_sdwa v56, v56, v57 dst_sel:WORD_1 dst_unused:UNUSED_PAD src0_sel:BYTE_0 src1_sel:DWORD
	v_cndmask_b32_e64 v58, 14, v58, s6
	v_cmp_ne_u32_e64 s6, 15, v53
	v_lshlrev_b16 v58, 8, v58
	v_cndmask_b32_e64 v59, 14, v59, s6
	v_cmp_ne_u32_e64 s6, 12, v53
	v_lshlrev_b16 v59, 8, v59
	v_cndmask_b32_e64 v60, 14, v23, s6
	v_cmp_ne_u32_e64 s6, 9, v53
	v_or_b32_sdwa v58, v60, v58 dst_sel:DWORD dst_unused:UNUSED_PAD src0_sel:BYTE_0 src1_sel:DWORD
	v_cndmask_b32_e64 v61, 14, v61, s6
	v_cmp_ne_u32_e64 s6, 11, v53
	v_lshlrev_b16 v61, 8, v61
	v_cndmask_b32_e64 v62, 14, v62, s6
	v_cmp_ne_u32_e64 s6, 8, v53
	v_lshlrev_b16 v62, 8, v62
	v_cndmask_b32_e64 v64, 14, v22, s6
	v_cmp_ne_u32_e64 s6, 10, v53
	v_or_b32_sdwa v61, v64, v61 dst_sel:DWORD dst_unused:UNUSED_PAD src0_sel:BYTE_0 src1_sel:DWORD
	v_cndmask_b32_e64 v65, 14, v65, s6
	v_cmp_ne_u32_e64 s6, 5, v53
	v_or_b32_sdwa v62, v65, v62 dst_sel:WORD_1 dst_unused:UNUSED_PAD src0_sel:BYTE_0 src1_sel:DWORD
	v_cndmask_b32_e64 v66, 14, v66, s6
	v_cmp_ne_u32_e64 s6, 7, v53
	v_lshlrev_b16 v66, 8, v66
	v_cndmask_b32_e64 v67, 14, v67, s6
	v_cmp_ne_u32_e64 s6, 4, v53
	v_lshlrev_b16 v67, 8, v67
	v_cndmask_b32_e64 v69, 14, v21, s6
	v_cmp_ne_u32_e64 s6, 6, v53
	v_cndmask_b32_e64 v68, 14, v68, s6
	v_cmp_ne_u32_e64 s6, 14, v53
	v_or_b32_sdwa v64, v68, v67 dst_sel:WORD_1 dst_unused:UNUSED_PAD src0_sel:BYTE_0 src1_sel:DWORD
	v_cndmask_b32_e64 v53, 14, v63, s6
	v_cmp_ne_u32_e64 s6, 1, v51
	v_or_b32_sdwa v63, v69, v66 dst_sel:DWORD dst_unused:UNUSED_PAD src0_sel:BYTE_0 src1_sel:DWORD
	v_or_b32_sdwa v53, v53, v59 dst_sel:WORD_1 dst_unused:UNUSED_PAD src0_sel:BYTE_0 src1_sel:DWORD
	v_or_b32_sdwa v59, v61, v62 dst_sel:DWORD dst_unused:UNUSED_PAD src0_sel:WORD_0 src1_sel:DWORD
	v_or_b32_sdwa v57, v63, v64 dst_sel:DWORD dst_unused:UNUSED_PAD src0_sel:WORD_0 src1_sel:DWORD
	;; [unrolled: 1-line block ×4, first 2 shown]
	v_lshrrev_b32_e32 v55, 8, v20
	v_cndmask_b32_e32 v21, v57, v21, vcc_lo
	v_cndmask_b32_e32 v22, v59, v22, vcc_lo
	;; [unrolled: 1-line block ×3, first 2 shown]
	v_lshrrev_b32_e32 v41, 24, v20
	v_cndmask_b32_e64 v54, 15, v55, s6
	v_cmp_ne_u32_e64 s6, 3, v51
	v_lshrrev_b32_e32 v55, 16, v20
	v_cndmask_b32_e32 v24, v53, v24, vcc_lo
	v_lshrrev_b32_e32 v53, 8, v26
	v_lshlrev_b16 v54, 8, v54
	v_cndmask_b32_e64 v41, 15, v41, s6
	v_cmp_ne_u32_e64 s6, 0, v51
	v_cmp_ne_u32_e32 vcc_lo, 21, v51
	v_lshrrev_b32_e32 v57, 16, v26
	v_lshrrev_b32_e32 v58, 8, v24
	v_lshlrev_b16 v41, 8, v41
	v_cndmask_b32_e64 v56, 15, v20, s6
	v_cmp_ne_u32_e64 s6, 2, v51
	v_cndmask_b32_e32 v53, 15, v53, vcc_lo
	v_cmp_ne_u32_e32 vcc_lo, 23, v51
	v_lshrrev_b32_e32 v59, 8, v22
	v_or_b32_sdwa v54, v56, v54 dst_sel:DWORD dst_unused:UNUSED_PAD src0_sel:BYTE_0 src1_sel:DWORD
	v_cndmask_b32_e64 v55, 15, v55, s6
	v_lshrrev_b32_e32 v56, 24, v26
	v_lshlrev_b16 v53, 8, v53
	v_cmp_ne_u32_e64 s6, 18, v51
	v_lshrrev_b32_e32 v60, 24, v22
	v_or_b32_sdwa v41, v55, v41 dst_sel:WORD_1 dst_unused:UNUSED_PAD src0_sel:BYTE_0 src1_sel:DWORD
	v_cndmask_b32_e32 v55, 15, v56, vcc_lo
	v_cmp_ne_u32_e32 vcc_lo, 20, v51
	v_lshrrev_b32_e32 v63, 16, v22
	v_lshrrev_b32_e32 v64, 8, v21
	v_or_b32_sdwa v41, v54, v41 dst_sel:DWORD dst_unused:UNUSED_PAD src0_sel:WORD_0 src1_sel:DWORD
	v_lshlrev_b16 v55, 8, v55
	v_cndmask_b32_e32 v56, 15, v26, vcc_lo
	v_cmp_ne_u32_e32 vcc_lo, 22, v51
	v_lshrrev_b32_e32 v65, 24, v21
	v_lshrrev_b32_e32 v66, 16, v21
	;; [unrolled: 1-line block ×3, first 2 shown]
	v_or_b32_sdwa v53, v56, v53 dst_sel:DWORD dst_unused:UNUSED_PAD src0_sel:BYTE_0 src1_sel:DWORD
	v_cndmask_b32_e32 v57, 15, v57, vcc_lo
	v_cmp_ne_u32_e32 vcc_lo, 17, v51
	v_lshrrev_b32_e32 v56, 24, v24
	v_or_b32_sdwa v55, v57, v55 dst_sel:WORD_1 dst_unused:UNUSED_PAD src0_sel:BYTE_0 src1_sel:DWORD
	v_cndmask_b32_e32 v54, 15, v58, vcc_lo
	v_cmp_ne_u32_e32 vcc_lo, 16, v51
	v_lshlrev_b16 v54, 8, v54
	v_cndmask_b32_e32 v57, 15, v24, vcc_lo
	v_cmp_ne_u32_e32 vcc_lo, 19, v51
	v_cndmask_b32_e32 v56, 15, v56, vcc_lo
	v_cmp_eq_u32_e32 vcc_lo, 0, v52
	v_or_b32_sdwa v52, v53, v55 dst_sel:DWORD dst_unused:UNUSED_PAD src0_sel:WORD_0 src1_sel:DWORD
	v_or_b32_sdwa v53, v57, v54 dst_sel:DWORD dst_unused:UNUSED_PAD src0_sel:BYTE_0 src1_sel:DWORD
	v_lshrrev_b32_e32 v54, 16, v24
	v_lshlrev_b16 v55, 8, v56
	v_lshrrev_b32_e32 v56, 8, v23
	v_lshrrev_b32_e32 v57, 24, v23
	v_cndmask_b32_e32 v20, v41, v20, vcc_lo
	v_cndmask_b32_e64 v54, 15, v54, s6
	v_cmp_ne_u32_e64 s6, 13, v51
	v_cndmask_b32_e32 v26, v52, v26, vcc_lo
	v_or_b32_sdwa v54, v54, v55 dst_sel:WORD_1 dst_unused:UNUSED_PAD src0_sel:BYTE_0 src1_sel:DWORD
	v_cndmask_b32_e64 v56, 15, v56, s6
	v_cmp_ne_u32_e64 s6, 15, v51
	v_lshlrev_b16 v56, 8, v56
	v_cndmask_b32_e64 v57, 15, v57, s6
	v_cmp_ne_u32_e64 s6, 12, v51
	v_lshlrev_b16 v57, 8, v57
	v_cndmask_b32_e64 v58, 15, v23, s6
	v_cmp_ne_u32_e64 s6, 9, v51
	v_or_b32_sdwa v56, v58, v56 dst_sel:DWORD dst_unused:UNUSED_PAD src0_sel:BYTE_0 src1_sel:DWORD
	v_cndmask_b32_e64 v59, 15, v59, s6
	v_cmp_ne_u32_e64 s6, 11, v51
	v_lshlrev_b16 v59, 8, v59
	v_cndmask_b32_e64 v60, 15, v60, s6
	v_cmp_ne_u32_e64 s6, 8, v51
	v_lshlrev_b16 v60, 8, v60
	v_cndmask_b32_e64 v62, 15, v22, s6
	v_cmp_ne_u32_e64 s6, 10, v51
	v_or_b32_sdwa v59, v62, v59 dst_sel:DWORD dst_unused:UNUSED_PAD src0_sel:BYTE_0 src1_sel:DWORD
	v_cndmask_b32_e64 v63, 15, v63, s6
	v_cmp_ne_u32_e64 s6, 5, v51
	v_or_b32_sdwa v60, v63, v60 dst_sel:WORD_1 dst_unused:UNUSED_PAD src0_sel:BYTE_0 src1_sel:DWORD
	v_cndmask_b32_e64 v64, 15, v64, s6
	v_cmp_ne_u32_e64 s6, 7, v51
	v_lshlrev_b16 v64, 8, v64
	v_cndmask_b32_e64 v65, 15, v65, s6
	v_cmp_ne_u32_e64 s6, 4, v51
	v_lshlrev_b16 v65, 8, v65
	v_cndmask_b32_e64 v67, 15, v21, s6
	v_cmp_ne_u32_e64 s6, 6, v51
	v_cndmask_b32_e64 v66, 15, v66, s6
	v_cmp_ne_u32_e64 s6, 14, v51
	v_or_b32_sdwa v62, v66, v65 dst_sel:WORD_1 dst_unused:UNUSED_PAD src0_sel:BYTE_0 src1_sel:DWORD
	v_cndmask_b32_e64 v51, 15, v61, s6
	v_cmp_ne_u32_e64 s6, 1, v49
	v_or_b32_sdwa v61, v67, v64 dst_sel:DWORD dst_unused:UNUSED_PAD src0_sel:BYTE_0 src1_sel:DWORD
	v_or_b32_sdwa v51, v51, v57 dst_sel:WORD_1 dst_unused:UNUSED_PAD src0_sel:BYTE_0 src1_sel:DWORD
	v_or_b32_sdwa v57, v59, v60 dst_sel:DWORD dst_unused:UNUSED_PAD src0_sel:WORD_0 src1_sel:DWORD
	v_or_b32_sdwa v55, v61, v62 dst_sel:DWORD dst_unused:UNUSED_PAD src0_sel:WORD_0 src1_sel:DWORD
	v_or_b32_sdwa v41, v56, v51 dst_sel:DWORD dst_unused:UNUSED_PAD src0_sel:WORD_0 src1_sel:DWORD
	v_or_b32_sdwa v51, v53, v54 dst_sel:DWORD dst_unused:UNUSED_PAD src0_sel:WORD_0 src1_sel:DWORD
	v_lshrrev_b32_e32 v53, 8, v20
	v_cndmask_b32_e32 v21, v55, v21, vcc_lo
	v_cndmask_b32_e32 v22, v57, v22, vcc_lo
	;; [unrolled: 1-line block ×3, first 2 shown]
	v_lshrrev_b32_e32 v41, 24, v20
	v_cndmask_b32_e64 v52, 16, v53, s6
	v_cmp_ne_u32_e64 s6, 3, v49
	v_lshrrev_b32_e32 v53, 16, v20
	v_cndmask_b32_e32 v24, v51, v24, vcc_lo
	v_lshrrev_b32_e32 v51, 8, v26
	v_lshlrev_b16 v52, 8, v52
	v_cndmask_b32_e64 v41, 16, v41, s6
	v_cmp_ne_u32_e64 s6, 0, v49
	v_cmp_ne_u32_e32 vcc_lo, 21, v49
	v_lshrrev_b32_e32 v55, 16, v26
	v_lshrrev_b32_e32 v56, 8, v24
	v_lshlrev_b16 v41, 8, v41
	v_cndmask_b32_e64 v54, 16, v20, s6
	v_cmp_ne_u32_e64 s6, 2, v49
	v_cndmask_b32_e32 v51, 16, v51, vcc_lo
	v_cmp_ne_u32_e32 vcc_lo, 23, v49
	v_lshrrev_b32_e32 v57, 8, v22
	v_or_b32_sdwa v52, v54, v52 dst_sel:DWORD dst_unused:UNUSED_PAD src0_sel:BYTE_0 src1_sel:DWORD
	v_cndmask_b32_e64 v53, 16, v53, s6
	v_lshrrev_b32_e32 v54, 24, v26
	v_lshlrev_b16 v51, 8, v51
	v_cmp_ne_u32_e64 s6, 18, v49
	v_lshrrev_b32_e32 v58, 24, v22
	v_or_b32_sdwa v41, v53, v41 dst_sel:WORD_1 dst_unused:UNUSED_PAD src0_sel:BYTE_0 src1_sel:DWORD
	v_cndmask_b32_e32 v53, 16, v54, vcc_lo
	v_cmp_ne_u32_e32 vcc_lo, 20, v49
	v_lshrrev_b32_e32 v61, 16, v22
	v_lshrrev_b32_e32 v62, 8, v21
	v_or_b32_sdwa v41, v52, v41 dst_sel:DWORD dst_unused:UNUSED_PAD src0_sel:WORD_0 src1_sel:DWORD
	v_lshlrev_b16 v53, 8, v53
	v_cndmask_b32_e32 v54, 16, v26, vcc_lo
	v_cmp_ne_u32_e32 vcc_lo, 22, v49
	v_lshrrev_b32_e32 v63, 24, v21
	v_lshrrev_b32_e32 v64, 16, v21
	;; [unrolled: 1-line block ×3, first 2 shown]
	v_or_b32_sdwa v51, v54, v51 dst_sel:DWORD dst_unused:UNUSED_PAD src0_sel:BYTE_0 src1_sel:DWORD
	v_cndmask_b32_e32 v55, 16, v55, vcc_lo
	v_cmp_ne_u32_e32 vcc_lo, 17, v49
	v_lshrrev_b32_e32 v54, 24, v24
	v_or_b32_sdwa v53, v55, v53 dst_sel:WORD_1 dst_unused:UNUSED_PAD src0_sel:BYTE_0 src1_sel:DWORD
	v_cndmask_b32_e32 v52, 16, v56, vcc_lo
	v_cmp_ne_u32_e32 vcc_lo, 16, v49
	v_lshlrev_b16 v52, 8, v52
	v_cndmask_b32_e32 v55, 16, v24, vcc_lo
	v_cmp_ne_u32_e32 vcc_lo, 19, v49
	v_cndmask_b32_e32 v54, 16, v54, vcc_lo
	v_cmp_eq_u32_e32 vcc_lo, 0, v50
	v_or_b32_sdwa v50, v51, v53 dst_sel:DWORD dst_unused:UNUSED_PAD src0_sel:WORD_0 src1_sel:DWORD
	v_or_b32_sdwa v51, v55, v52 dst_sel:DWORD dst_unused:UNUSED_PAD src0_sel:BYTE_0 src1_sel:DWORD
	v_lshrrev_b32_e32 v52, 16, v24
	v_lshlrev_b16 v53, 8, v54
	v_lshrrev_b32_e32 v54, 8, v23
	v_lshrrev_b32_e32 v55, 24, v23
	v_cndmask_b32_e32 v20, v41, v20, vcc_lo
	v_cndmask_b32_e64 v52, 16, v52, s6
	v_cmp_ne_u32_e64 s6, 13, v49
	v_cndmask_b32_e32 v26, v50, v26, vcc_lo
	v_or_b32_sdwa v52, v52, v53 dst_sel:WORD_1 dst_unused:UNUSED_PAD src0_sel:BYTE_0 src1_sel:DWORD
	v_cndmask_b32_e64 v54, 16, v54, s6
	v_cmp_ne_u32_e64 s6, 15, v49
	v_lshlrev_b16 v54, 8, v54
	v_cndmask_b32_e64 v55, 16, v55, s6
	v_cmp_ne_u32_e64 s6, 12, v49
	v_lshlrev_b16 v55, 8, v55
	v_cndmask_b32_e64 v56, 16, v23, s6
	v_cmp_ne_u32_e64 s6, 9, v49
	v_or_b32_sdwa v54, v56, v54 dst_sel:DWORD dst_unused:UNUSED_PAD src0_sel:BYTE_0 src1_sel:DWORD
	v_cndmask_b32_e64 v57, 16, v57, s6
	v_cmp_ne_u32_e64 s6, 11, v49
	v_lshlrev_b16 v57, 8, v57
	v_cndmask_b32_e64 v58, 16, v58, s6
	v_cmp_ne_u32_e64 s6, 8, v49
	v_lshlrev_b16 v58, 8, v58
	v_cndmask_b32_e64 v60, 16, v22, s6
	v_cmp_ne_u32_e64 s6, 10, v49
	v_or_b32_sdwa v57, v60, v57 dst_sel:DWORD dst_unused:UNUSED_PAD src0_sel:BYTE_0 src1_sel:DWORD
	v_cndmask_b32_e64 v61, 16, v61, s6
	v_cmp_ne_u32_e64 s6, 5, v49
	v_or_b32_sdwa v58, v61, v58 dst_sel:WORD_1 dst_unused:UNUSED_PAD src0_sel:BYTE_0 src1_sel:DWORD
	v_cndmask_b32_e64 v62, 16, v62, s6
	v_cmp_ne_u32_e64 s6, 7, v49
	v_lshlrev_b16 v62, 8, v62
	v_cndmask_b32_e64 v63, 16, v63, s6
	v_cmp_ne_u32_e64 s6, 4, v49
	v_lshlrev_b16 v63, 8, v63
	v_cndmask_b32_e64 v65, 16, v21, s6
	v_cmp_ne_u32_e64 s6, 6, v49
	v_cndmask_b32_e64 v64, 16, v64, s6
	v_cmp_ne_u32_e64 s6, 14, v49
	v_or_b32_sdwa v60, v64, v63 dst_sel:WORD_1 dst_unused:UNUSED_PAD src0_sel:BYTE_0 src1_sel:DWORD
	v_cndmask_b32_e64 v49, 16, v59, s6
	v_cmp_ne_u32_e64 s6, 1, v47
	v_or_b32_sdwa v59, v65, v62 dst_sel:DWORD dst_unused:UNUSED_PAD src0_sel:BYTE_0 src1_sel:DWORD
	v_or_b32_sdwa v49, v49, v55 dst_sel:WORD_1 dst_unused:UNUSED_PAD src0_sel:BYTE_0 src1_sel:DWORD
	v_or_b32_sdwa v55, v57, v58 dst_sel:DWORD dst_unused:UNUSED_PAD src0_sel:WORD_0 src1_sel:DWORD
	v_or_b32_sdwa v53, v59, v60 dst_sel:DWORD dst_unused:UNUSED_PAD src0_sel:WORD_0 src1_sel:DWORD
	;; [unrolled: 1-line block ×4, first 2 shown]
	v_lshrrev_b32_e32 v51, 8, v20
	v_cndmask_b32_e32 v21, v53, v21, vcc_lo
	v_cndmask_b32_e32 v22, v55, v22, vcc_lo
	;; [unrolled: 1-line block ×3, first 2 shown]
	v_lshrrev_b32_e32 v41, 24, v20
	v_cndmask_b32_e64 v50, 17, v51, s6
	v_cmp_ne_u32_e64 s6, 3, v47
	v_lshrrev_b32_e32 v51, 16, v20
	v_cndmask_b32_e32 v24, v49, v24, vcc_lo
	v_lshrrev_b32_e32 v49, 8, v26
	v_lshlrev_b16 v50, 8, v50
	v_cndmask_b32_e64 v41, 17, v41, s6
	v_cmp_ne_u32_e64 s6, 0, v47
	v_cmp_ne_u32_e32 vcc_lo, 21, v47
	v_lshrrev_b32_e32 v53, 16, v26
	v_lshrrev_b32_e32 v54, 8, v24
	v_lshlrev_b16 v41, 8, v41
	v_cndmask_b32_e64 v52, 17, v20, s6
	v_cmp_ne_u32_e64 s6, 2, v47
	v_cndmask_b32_e32 v49, 17, v49, vcc_lo
	v_cmp_ne_u32_e32 vcc_lo, 23, v47
	v_lshrrev_b32_e32 v55, 8, v22
	v_or_b32_sdwa v50, v52, v50 dst_sel:DWORD dst_unused:UNUSED_PAD src0_sel:BYTE_0 src1_sel:DWORD
	v_cndmask_b32_e64 v51, 17, v51, s6
	v_lshrrev_b32_e32 v52, 24, v26
	v_lshlrev_b16 v49, 8, v49
	v_cmp_ne_u32_e64 s6, 18, v47
	v_lshrrev_b32_e32 v56, 24, v22
	v_or_b32_sdwa v41, v51, v41 dst_sel:WORD_1 dst_unused:UNUSED_PAD src0_sel:BYTE_0 src1_sel:DWORD
	v_cndmask_b32_e32 v51, 17, v52, vcc_lo
	v_cmp_ne_u32_e32 vcc_lo, 20, v47
	v_lshrrev_b32_e32 v59, 16, v22
	v_lshrrev_b32_e32 v60, 8, v21
	v_or_b32_sdwa v41, v50, v41 dst_sel:DWORD dst_unused:UNUSED_PAD src0_sel:WORD_0 src1_sel:DWORD
	v_lshlrev_b16 v51, 8, v51
	v_cndmask_b32_e32 v52, 17, v26, vcc_lo
	v_cmp_ne_u32_e32 vcc_lo, 22, v47
	v_lshrrev_b32_e32 v61, 24, v21
	v_lshrrev_b32_e32 v62, 16, v21
	;; [unrolled: 1-line block ×3, first 2 shown]
	v_or_b32_sdwa v49, v52, v49 dst_sel:DWORD dst_unused:UNUSED_PAD src0_sel:BYTE_0 src1_sel:DWORD
	v_cndmask_b32_e32 v53, 17, v53, vcc_lo
	v_cmp_ne_u32_e32 vcc_lo, 17, v47
	v_lshrrev_b32_e32 v52, 24, v24
	v_or_b32_sdwa v51, v53, v51 dst_sel:WORD_1 dst_unused:UNUSED_PAD src0_sel:BYTE_0 src1_sel:DWORD
	v_cndmask_b32_e32 v50, 17, v54, vcc_lo
	v_cmp_ne_u32_e32 vcc_lo, 16, v47
	v_lshlrev_b16 v50, 8, v50
	v_cndmask_b32_e32 v53, 17, v24, vcc_lo
	v_cmp_ne_u32_e32 vcc_lo, 19, v47
	v_cndmask_b32_e32 v52, 17, v52, vcc_lo
	v_cmp_eq_u32_e32 vcc_lo, 0, v48
	v_or_b32_sdwa v48, v49, v51 dst_sel:DWORD dst_unused:UNUSED_PAD src0_sel:WORD_0 src1_sel:DWORD
	v_or_b32_sdwa v49, v53, v50 dst_sel:DWORD dst_unused:UNUSED_PAD src0_sel:BYTE_0 src1_sel:DWORD
	v_lshrrev_b32_e32 v50, 16, v24
	v_lshlrev_b16 v51, 8, v52
	v_lshrrev_b32_e32 v52, 8, v23
	v_lshrrev_b32_e32 v53, 24, v23
	v_cndmask_b32_e32 v20, v41, v20, vcc_lo
	v_cndmask_b32_e64 v50, 17, v50, s6
	v_cmp_ne_u32_e64 s6, 13, v47
	v_cndmask_b32_e32 v26, v48, v26, vcc_lo
	v_or_b32_sdwa v50, v50, v51 dst_sel:WORD_1 dst_unused:UNUSED_PAD src0_sel:BYTE_0 src1_sel:DWORD
	v_cndmask_b32_e64 v52, 17, v52, s6
	v_cmp_ne_u32_e64 s6, 15, v47
	v_lshlrev_b16 v52, 8, v52
	v_cndmask_b32_e64 v53, 17, v53, s6
	v_cmp_ne_u32_e64 s6, 12, v47
	v_lshlrev_b16 v53, 8, v53
	v_cndmask_b32_e64 v54, 17, v23, s6
	v_cmp_ne_u32_e64 s6, 9, v47
	v_or_b32_sdwa v52, v54, v52 dst_sel:DWORD dst_unused:UNUSED_PAD src0_sel:BYTE_0 src1_sel:DWORD
	v_cndmask_b32_e64 v55, 17, v55, s6
	v_cmp_ne_u32_e64 s6, 11, v47
	v_lshlrev_b16 v55, 8, v55
	v_cndmask_b32_e64 v56, 17, v56, s6
	v_cmp_ne_u32_e64 s6, 8, v47
	v_lshlrev_b16 v56, 8, v56
	v_cndmask_b32_e64 v58, 17, v22, s6
	v_cmp_ne_u32_e64 s6, 10, v47
	v_or_b32_sdwa v55, v58, v55 dst_sel:DWORD dst_unused:UNUSED_PAD src0_sel:BYTE_0 src1_sel:DWORD
	v_cndmask_b32_e64 v59, 17, v59, s6
	v_cmp_ne_u32_e64 s6, 5, v47
	v_or_b32_sdwa v56, v59, v56 dst_sel:WORD_1 dst_unused:UNUSED_PAD src0_sel:BYTE_0 src1_sel:DWORD
	v_cndmask_b32_e64 v60, 17, v60, s6
	v_cmp_ne_u32_e64 s6, 7, v47
	v_lshlrev_b16 v60, 8, v60
	v_cndmask_b32_e64 v61, 17, v61, s6
	v_cmp_ne_u32_e64 s6, 4, v47
	v_lshlrev_b16 v61, 8, v61
	v_cndmask_b32_e64 v63, 17, v21, s6
	v_cmp_ne_u32_e64 s6, 6, v47
	v_cndmask_b32_e64 v62, 17, v62, s6
	v_cmp_ne_u32_e64 s6, 14, v47
	v_or_b32_sdwa v58, v62, v61 dst_sel:WORD_1 dst_unused:UNUSED_PAD src0_sel:BYTE_0 src1_sel:DWORD
	v_cndmask_b32_e64 v47, 17, v57, s6
	v_cmp_ne_u32_e64 s6, 1, v45
	v_or_b32_sdwa v57, v63, v60 dst_sel:DWORD dst_unused:UNUSED_PAD src0_sel:BYTE_0 src1_sel:DWORD
	v_or_b32_sdwa v47, v47, v53 dst_sel:WORD_1 dst_unused:UNUSED_PAD src0_sel:BYTE_0 src1_sel:DWORD
	v_or_b32_sdwa v53, v55, v56 dst_sel:DWORD dst_unused:UNUSED_PAD src0_sel:WORD_0 src1_sel:DWORD
	v_or_b32_sdwa v51, v57, v58 dst_sel:DWORD dst_unused:UNUSED_PAD src0_sel:WORD_0 src1_sel:DWORD
	;; [unrolled: 1-line block ×4, first 2 shown]
	v_lshrrev_b32_e32 v49, 8, v20
	v_cndmask_b32_e32 v21, v51, v21, vcc_lo
	v_cndmask_b32_e32 v22, v53, v22, vcc_lo
	;; [unrolled: 1-line block ×3, first 2 shown]
	v_lshrrev_b32_e32 v41, 24, v20
	v_cndmask_b32_e64 v48, 18, v49, s6
	v_cmp_ne_u32_e64 s6, 3, v45
	v_lshrrev_b32_e32 v49, 16, v20
	v_cndmask_b32_e32 v24, v47, v24, vcc_lo
	v_lshrrev_b32_e32 v47, 8, v26
	v_lshlrev_b16 v48, 8, v48
	v_cndmask_b32_e64 v41, 18, v41, s6
	v_cmp_ne_u32_e64 s6, 0, v45
	v_cmp_ne_u32_e32 vcc_lo, 21, v45
	v_lshrrev_b32_e32 v51, 16, v26
	v_lshrrev_b32_e32 v52, 8, v24
	v_lshlrev_b16 v41, 8, v41
	v_cndmask_b32_e64 v50, 18, v20, s6
	v_cmp_ne_u32_e64 s6, 2, v45
	v_cndmask_b32_e32 v47, 18, v47, vcc_lo
	v_cmp_ne_u32_e32 vcc_lo, 23, v45
	v_lshrrev_b32_e32 v53, 8, v22
	v_or_b32_sdwa v48, v50, v48 dst_sel:DWORD dst_unused:UNUSED_PAD src0_sel:BYTE_0 src1_sel:DWORD
	v_cndmask_b32_e64 v49, 18, v49, s6
	v_lshrrev_b32_e32 v50, 24, v26
	v_lshlrev_b16 v47, 8, v47
	v_cmp_ne_u32_e64 s6, 18, v45
	v_lshrrev_b32_e32 v54, 24, v22
	v_or_b32_sdwa v41, v49, v41 dst_sel:WORD_1 dst_unused:UNUSED_PAD src0_sel:BYTE_0 src1_sel:DWORD
	v_cndmask_b32_e32 v49, 18, v50, vcc_lo
	v_cmp_ne_u32_e32 vcc_lo, 20, v45
	v_lshrrev_b32_e32 v57, 16, v22
	v_lshrrev_b32_e32 v58, 8, v21
	v_or_b32_sdwa v41, v48, v41 dst_sel:DWORD dst_unused:UNUSED_PAD src0_sel:WORD_0 src1_sel:DWORD
	v_lshlrev_b16 v49, 8, v49
	v_cndmask_b32_e32 v50, 18, v26, vcc_lo
	v_cmp_ne_u32_e32 vcc_lo, 22, v45
	v_lshrrev_b32_e32 v59, 24, v21
	v_lshrrev_b32_e32 v60, 16, v21
	;; [unrolled: 1-line block ×3, first 2 shown]
	v_or_b32_sdwa v47, v50, v47 dst_sel:DWORD dst_unused:UNUSED_PAD src0_sel:BYTE_0 src1_sel:DWORD
	v_cndmask_b32_e32 v51, 18, v51, vcc_lo
	v_cmp_ne_u32_e32 vcc_lo, 17, v45
	v_lshrrev_b32_e32 v50, 24, v24
	v_or_b32_sdwa v49, v51, v49 dst_sel:WORD_1 dst_unused:UNUSED_PAD src0_sel:BYTE_0 src1_sel:DWORD
	v_cndmask_b32_e32 v48, 18, v52, vcc_lo
	v_cmp_ne_u32_e32 vcc_lo, 16, v45
	v_lshlrev_b16 v48, 8, v48
	v_cndmask_b32_e32 v51, 18, v24, vcc_lo
	v_cmp_ne_u32_e32 vcc_lo, 19, v45
	v_cndmask_b32_e32 v50, 18, v50, vcc_lo
	v_cmp_eq_u32_e32 vcc_lo, 0, v46
	v_or_b32_sdwa v46, v47, v49 dst_sel:DWORD dst_unused:UNUSED_PAD src0_sel:WORD_0 src1_sel:DWORD
	v_or_b32_sdwa v47, v51, v48 dst_sel:DWORD dst_unused:UNUSED_PAD src0_sel:BYTE_0 src1_sel:DWORD
	v_lshrrev_b32_e32 v48, 16, v24
	v_lshlrev_b16 v49, 8, v50
	v_lshrrev_b32_e32 v50, 8, v23
	v_lshrrev_b32_e32 v51, 24, v23
	v_cndmask_b32_e32 v20, v41, v20, vcc_lo
	v_cndmask_b32_e64 v48, 18, v48, s6
	v_cmp_ne_u32_e64 s6, 13, v45
	v_cndmask_b32_e32 v26, v46, v26, vcc_lo
	v_or_b32_sdwa v48, v48, v49 dst_sel:WORD_1 dst_unused:UNUSED_PAD src0_sel:BYTE_0 src1_sel:DWORD
	v_cndmask_b32_e64 v50, 18, v50, s6
	v_cmp_ne_u32_e64 s6, 15, v45
	v_lshlrev_b16 v50, 8, v50
	v_cndmask_b32_e64 v51, 18, v51, s6
	v_cmp_ne_u32_e64 s6, 12, v45
	v_lshlrev_b16 v51, 8, v51
	v_cndmask_b32_e64 v52, 18, v23, s6
	v_cmp_ne_u32_e64 s6, 9, v45
	v_or_b32_sdwa v50, v52, v50 dst_sel:DWORD dst_unused:UNUSED_PAD src0_sel:BYTE_0 src1_sel:DWORD
	v_cndmask_b32_e64 v53, 18, v53, s6
	v_cmp_ne_u32_e64 s6, 11, v45
	v_lshlrev_b16 v53, 8, v53
	v_cndmask_b32_e64 v54, 18, v54, s6
	v_cmp_ne_u32_e64 s6, 8, v45
	v_lshlrev_b16 v54, 8, v54
	v_cndmask_b32_e64 v56, 18, v22, s6
	v_cmp_ne_u32_e64 s6, 10, v45
	v_or_b32_sdwa v53, v56, v53 dst_sel:DWORD dst_unused:UNUSED_PAD src0_sel:BYTE_0 src1_sel:DWORD
	v_cndmask_b32_e64 v57, 18, v57, s6
	v_cmp_ne_u32_e64 s6, 5, v45
	v_or_b32_sdwa v54, v57, v54 dst_sel:WORD_1 dst_unused:UNUSED_PAD src0_sel:BYTE_0 src1_sel:DWORD
	v_cndmask_b32_e64 v58, 18, v58, s6
	v_cmp_ne_u32_e64 s6, 7, v45
	v_lshlrev_b16 v58, 8, v58
	v_cndmask_b32_e64 v59, 18, v59, s6
	v_cmp_ne_u32_e64 s6, 4, v45
	v_lshlrev_b16 v59, 8, v59
	v_cndmask_b32_e64 v61, 18, v21, s6
	v_cmp_ne_u32_e64 s6, 6, v45
	v_cndmask_b32_e64 v60, 18, v60, s6
	v_cmp_ne_u32_e64 s6, 14, v45
	v_or_b32_sdwa v56, v60, v59 dst_sel:WORD_1 dst_unused:UNUSED_PAD src0_sel:BYTE_0 src1_sel:DWORD
	v_cndmask_b32_e64 v45, 18, v55, s6
	v_cmp_ne_u32_e64 s6, 1, v43
	v_or_b32_sdwa v55, v61, v58 dst_sel:DWORD dst_unused:UNUSED_PAD src0_sel:BYTE_0 src1_sel:DWORD
	v_or_b32_sdwa v45, v45, v51 dst_sel:WORD_1 dst_unused:UNUSED_PAD src0_sel:BYTE_0 src1_sel:DWORD
	v_or_b32_sdwa v51, v53, v54 dst_sel:DWORD dst_unused:UNUSED_PAD src0_sel:WORD_0 src1_sel:DWORD
	v_or_b32_sdwa v49, v55, v56 dst_sel:DWORD dst_unused:UNUSED_PAD src0_sel:WORD_0 src1_sel:DWORD
	;; [unrolled: 1-line block ×4, first 2 shown]
	v_lshrrev_b32_e32 v47, 8, v20
	v_cndmask_b32_e32 v21, v49, v21, vcc_lo
	v_cndmask_b32_e32 v22, v51, v22, vcc_lo
	v_cndmask_b32_e32 v23, v41, v23, vcc_lo
	v_lshrrev_b32_e32 v41, 24, v20
	v_cndmask_b32_e64 v46, 19, v47, s6
	v_cmp_ne_u32_e64 s6, 3, v43
	v_lshrrev_b32_e32 v47, 16, v20
	v_cndmask_b32_e32 v24, v45, v24, vcc_lo
	v_lshrrev_b32_e32 v45, 8, v26
	v_lshlrev_b16 v46, 8, v46
	v_cndmask_b32_e64 v41, 19, v41, s6
	v_cmp_ne_u32_e64 s6, 0, v43
	v_cmp_ne_u32_e32 vcc_lo, 21, v43
	v_lshrrev_b32_e32 v49, 16, v26
	v_lshrrev_b32_e32 v50, 8, v24
	v_lshlrev_b16 v41, 8, v41
	v_cndmask_b32_e64 v48, 19, v20, s6
	v_cmp_ne_u32_e64 s6, 2, v43
	v_cndmask_b32_e32 v45, 19, v45, vcc_lo
	v_cmp_ne_u32_e32 vcc_lo, 23, v43
	v_lshrrev_b32_e32 v51, 8, v22
	v_or_b32_sdwa v46, v48, v46 dst_sel:DWORD dst_unused:UNUSED_PAD src0_sel:BYTE_0 src1_sel:DWORD
	v_cndmask_b32_e64 v47, 19, v47, s6
	v_lshrrev_b32_e32 v48, 24, v26
	v_lshlrev_b16 v45, 8, v45
	v_cmp_ne_u32_e64 s6, 18, v43
	v_lshrrev_b32_e32 v52, 24, v22
	v_or_b32_sdwa v41, v47, v41 dst_sel:WORD_1 dst_unused:UNUSED_PAD src0_sel:BYTE_0 src1_sel:DWORD
	v_cndmask_b32_e32 v47, 19, v48, vcc_lo
	v_cmp_ne_u32_e32 vcc_lo, 20, v43
	v_lshrrev_b32_e32 v55, 16, v22
	v_lshrrev_b32_e32 v56, 8, v21
	v_or_b32_sdwa v41, v46, v41 dst_sel:DWORD dst_unused:UNUSED_PAD src0_sel:WORD_0 src1_sel:DWORD
	v_lshlrev_b16 v47, 8, v47
	v_cndmask_b32_e32 v48, 19, v26, vcc_lo
	v_cmp_ne_u32_e32 vcc_lo, 22, v43
	v_lshrrev_b32_e32 v57, 24, v21
	v_lshrrev_b32_e32 v58, 16, v21
	;; [unrolled: 1-line block ×3, first 2 shown]
	v_or_b32_sdwa v45, v48, v45 dst_sel:DWORD dst_unused:UNUSED_PAD src0_sel:BYTE_0 src1_sel:DWORD
	v_cndmask_b32_e32 v49, 19, v49, vcc_lo
	v_cmp_ne_u32_e32 vcc_lo, 17, v43
	v_lshrrev_b32_e32 v48, 24, v24
	v_or_b32_sdwa v47, v49, v47 dst_sel:WORD_1 dst_unused:UNUSED_PAD src0_sel:BYTE_0 src1_sel:DWORD
	v_cndmask_b32_e32 v46, 19, v50, vcc_lo
	v_cmp_ne_u32_e32 vcc_lo, 16, v43
	v_lshlrev_b16 v46, 8, v46
	v_cndmask_b32_e32 v49, 19, v24, vcc_lo
	v_cmp_ne_u32_e32 vcc_lo, 19, v43
	v_cndmask_b32_e32 v48, 19, v48, vcc_lo
	v_cmp_eq_u32_e32 vcc_lo, 0, v44
	v_or_b32_sdwa v44, v45, v47 dst_sel:DWORD dst_unused:UNUSED_PAD src0_sel:WORD_0 src1_sel:DWORD
	v_or_b32_sdwa v45, v49, v46 dst_sel:DWORD dst_unused:UNUSED_PAD src0_sel:BYTE_0 src1_sel:DWORD
	v_lshrrev_b32_e32 v46, 16, v24
	v_lshlrev_b16 v47, 8, v48
	v_lshrrev_b32_e32 v48, 8, v23
	v_lshrrev_b32_e32 v49, 24, v23
	v_cndmask_b32_e32 v20, v41, v20, vcc_lo
	v_cndmask_b32_e64 v46, 19, v46, s6
	v_cmp_ne_u32_e64 s6, 13, v43
	v_cndmask_b32_e32 v26, v44, v26, vcc_lo
	v_or_b32_sdwa v46, v46, v47 dst_sel:WORD_1 dst_unused:UNUSED_PAD src0_sel:BYTE_0 src1_sel:DWORD
	v_cndmask_b32_e64 v48, 19, v48, s6
	v_cmp_ne_u32_e64 s6, 15, v43
	v_lshlrev_b16 v48, 8, v48
	v_cndmask_b32_e64 v49, 19, v49, s6
	v_cmp_ne_u32_e64 s6, 12, v43
	v_lshlrev_b16 v49, 8, v49
	v_cndmask_b32_e64 v50, 19, v23, s6
	v_cmp_ne_u32_e64 s6, 9, v43
	v_or_b32_sdwa v48, v50, v48 dst_sel:DWORD dst_unused:UNUSED_PAD src0_sel:BYTE_0 src1_sel:DWORD
	v_cndmask_b32_e64 v51, 19, v51, s6
	v_cmp_ne_u32_e64 s6, 11, v43
	v_lshlrev_b16 v51, 8, v51
	v_cndmask_b32_e64 v52, 19, v52, s6
	v_cmp_ne_u32_e64 s6, 8, v43
	v_lshlrev_b16 v52, 8, v52
	v_cndmask_b32_e64 v54, 19, v22, s6
	v_cmp_ne_u32_e64 s6, 10, v43
	v_or_b32_sdwa v51, v54, v51 dst_sel:DWORD dst_unused:UNUSED_PAD src0_sel:BYTE_0 src1_sel:DWORD
	v_cndmask_b32_e64 v55, 19, v55, s6
	v_cmp_ne_u32_e64 s6, 5, v43
	v_or_b32_sdwa v52, v55, v52 dst_sel:WORD_1 dst_unused:UNUSED_PAD src0_sel:BYTE_0 src1_sel:DWORD
	v_cndmask_b32_e64 v56, 19, v56, s6
	v_cmp_ne_u32_e64 s6, 7, v43
	v_lshlrev_b16 v56, 8, v56
	v_cndmask_b32_e64 v57, 19, v57, s6
	v_cmp_ne_u32_e64 s6, 4, v43
	v_lshlrev_b16 v57, 8, v57
	v_cndmask_b32_e64 v59, 19, v21, s6
	v_cmp_ne_u32_e64 s6, 6, v43
	v_cndmask_b32_e64 v58, 19, v58, s6
	v_cmp_ne_u32_e64 s6, 14, v43
	v_or_b32_sdwa v54, v58, v57 dst_sel:WORD_1 dst_unused:UNUSED_PAD src0_sel:BYTE_0 src1_sel:DWORD
	v_cndmask_b32_e64 v43, 19, v53, s6
	v_cmp_ne_u32_e64 s6, 1, v36
	v_or_b32_sdwa v53, v59, v56 dst_sel:DWORD dst_unused:UNUSED_PAD src0_sel:BYTE_0 src1_sel:DWORD
	v_or_b32_sdwa v43, v43, v49 dst_sel:WORD_1 dst_unused:UNUSED_PAD src0_sel:BYTE_0 src1_sel:DWORD
	v_or_b32_sdwa v49, v51, v52 dst_sel:DWORD dst_unused:UNUSED_PAD src0_sel:WORD_0 src1_sel:DWORD
	v_or_b32_sdwa v47, v53, v54 dst_sel:DWORD dst_unused:UNUSED_PAD src0_sel:WORD_0 src1_sel:DWORD
	;; [unrolled: 1-line block ×4, first 2 shown]
	v_lshrrev_b32_e32 v45, 8, v20
	v_cndmask_b32_e32 v21, v47, v21, vcc_lo
	v_cndmask_b32_e32 v22, v49, v22, vcc_lo
	;; [unrolled: 1-line block ×3, first 2 shown]
	v_lshrrev_b32_e32 v41, 24, v20
	v_cndmask_b32_e64 v44, 20, v45, s6
	v_cmp_ne_u32_e64 s6, 3, v36
	v_lshrrev_b32_e32 v45, 16, v20
	v_cndmask_b32_e32 v24, v43, v24, vcc_lo
	v_lshrrev_b32_e32 v43, 8, v26
	v_lshlrev_b16 v44, 8, v44
	v_cndmask_b32_e64 v41, 20, v41, s6
	v_cmp_ne_u32_e64 s6, 0, v36
	v_cmp_ne_u32_e32 vcc_lo, 21, v36
	v_lshrrev_b32_e32 v47, 16, v26
	v_lshrrev_b32_e32 v48, 8, v24
	v_lshlrev_b16 v41, 8, v41
	v_cndmask_b32_e64 v46, 20, v20, s6
	v_cmp_ne_u32_e64 s6, 2, v36
	v_cndmask_b32_e32 v43, 20, v43, vcc_lo
	v_cmp_ne_u32_e32 vcc_lo, 23, v36
	v_lshrrev_b32_e32 v49, 8, v22
	v_or_b32_sdwa v44, v46, v44 dst_sel:DWORD dst_unused:UNUSED_PAD src0_sel:BYTE_0 src1_sel:DWORD
	v_cndmask_b32_e64 v45, 20, v45, s6
	v_lshrrev_b32_e32 v46, 24, v26
	v_lshlrev_b16 v43, 8, v43
	v_cmp_ne_u32_e64 s6, 18, v36
	v_lshrrev_b32_e32 v50, 24, v22
	v_or_b32_sdwa v41, v45, v41 dst_sel:WORD_1 dst_unused:UNUSED_PAD src0_sel:BYTE_0 src1_sel:DWORD
	v_cndmask_b32_e32 v45, 20, v46, vcc_lo
	v_cmp_ne_u32_e32 vcc_lo, 20, v36
	v_lshrrev_b32_e32 v53, 16, v22
	v_lshrrev_b32_e32 v54, 8, v21
	v_or_b32_sdwa v41, v44, v41 dst_sel:DWORD dst_unused:UNUSED_PAD src0_sel:WORD_0 src1_sel:DWORD
	v_lshlrev_b16 v45, 8, v45
	v_cndmask_b32_e32 v46, 20, v26, vcc_lo
	v_cmp_ne_u32_e32 vcc_lo, 22, v36
	v_lshrrev_b32_e32 v55, 24, v21
	v_lshrrev_b32_e32 v56, 16, v21
	;; [unrolled: 1-line block ×3, first 2 shown]
	v_or_b32_sdwa v43, v46, v43 dst_sel:DWORD dst_unused:UNUSED_PAD src0_sel:BYTE_0 src1_sel:DWORD
	v_cndmask_b32_e32 v47, 20, v47, vcc_lo
	v_cmp_ne_u32_e32 vcc_lo, 17, v36
	v_lshrrev_b32_e32 v46, 24, v24
	v_or_b32_sdwa v45, v47, v45 dst_sel:WORD_1 dst_unused:UNUSED_PAD src0_sel:BYTE_0 src1_sel:DWORD
	v_cndmask_b32_e32 v44, 20, v48, vcc_lo
	v_cmp_ne_u32_e32 vcc_lo, 16, v36
	v_lshlrev_b16 v44, 8, v44
	v_cndmask_b32_e32 v47, 20, v24, vcc_lo
	v_cmp_ne_u32_e32 vcc_lo, 19, v36
	v_cndmask_b32_e32 v46, 20, v46, vcc_lo
	v_cmp_eq_u32_e32 vcc_lo, 0, v42
	v_or_b32_sdwa v42, v43, v45 dst_sel:DWORD dst_unused:UNUSED_PAD src0_sel:WORD_0 src1_sel:DWORD
	v_or_b32_sdwa v43, v47, v44 dst_sel:DWORD dst_unused:UNUSED_PAD src0_sel:BYTE_0 src1_sel:DWORD
	v_lshrrev_b32_e32 v44, 16, v24
	v_lshlrev_b16 v45, 8, v46
	v_lshrrev_b32_e32 v46, 8, v23
	v_lshrrev_b32_e32 v47, 24, v23
	v_cndmask_b32_e32 v20, v41, v20, vcc_lo
	v_cndmask_b32_e64 v44, 20, v44, s6
	v_cmp_ne_u32_e64 s6, 13, v36
	v_cndmask_b32_e32 v26, v42, v26, vcc_lo
	v_or_b32_sdwa v44, v44, v45 dst_sel:WORD_1 dst_unused:UNUSED_PAD src0_sel:BYTE_0 src1_sel:DWORD
	v_cndmask_b32_e64 v46, 20, v46, s6
	v_cmp_ne_u32_e64 s6, 15, v36
	v_or_b32_sdwa v41, v43, v44 dst_sel:DWORD dst_unused:UNUSED_PAD src0_sel:WORD_0 src1_sel:DWORD
	v_lshlrev_b16 v46, 8, v46
	v_cndmask_b32_e64 v47, 20, v47, s6
	v_cmp_ne_u32_e64 s6, 12, v36
	v_lshrrev_b32_e32 v43, 8, v20
	v_cndmask_b32_e32 v24, v41, v24, vcc_lo
	v_lshrrev_b32_e32 v41, 8, v26
	v_lshlrev_b16 v47, 8, v47
	v_cndmask_b32_e64 v48, 20, v23, s6
	v_cmp_ne_u32_e64 s6, 9, v36
	v_or_b32_sdwa v46, v48, v46 dst_sel:DWORD dst_unused:UNUSED_PAD src0_sel:BYTE_0 src1_sel:DWORD
	v_cndmask_b32_e64 v49, 20, v49, s6
	v_cmp_ne_u32_e64 s6, 11, v36
	v_lshlrev_b16 v49, 8, v49
	v_cndmask_b32_e64 v50, 20, v50, s6
	v_cmp_ne_u32_e64 s6, 8, v36
	v_lshlrev_b16 v50, 8, v50
	v_cndmask_b32_e64 v52, 20, v22, s6
	v_cmp_ne_u32_e64 s6, 10, v36
	v_or_b32_sdwa v49, v52, v49 dst_sel:DWORD dst_unused:UNUSED_PAD src0_sel:BYTE_0 src1_sel:DWORD
	v_cndmask_b32_e64 v53, 20, v53, s6
	v_cmp_ne_u32_e64 s6, 5, v36
	v_or_b32_sdwa v50, v53, v50 dst_sel:WORD_1 dst_unused:UNUSED_PAD src0_sel:BYTE_0 src1_sel:DWORD
	v_cndmask_b32_e64 v54, 20, v54, s6
	v_cmp_ne_u32_e64 s6, 7, v36
	v_lshlrev_b16 v54, 8, v54
	v_cndmask_b32_e64 v55, 20, v55, s6
	v_cmp_ne_u32_e64 s6, 4, v36
	v_lshlrev_b16 v55, 8, v55
	v_cndmask_b32_e64 v57, 20, v21, s6
	v_cmp_ne_u32_e64 s6, 6, v36
	v_cndmask_b32_e64 v56, 20, v56, s6
	v_cmp_ne_u32_e64 s6, 14, v36
	v_or_b32_sdwa v52, v56, v55 dst_sel:WORD_1 dst_unused:UNUSED_PAD src0_sel:BYTE_0 src1_sel:DWORD
	v_cndmask_b32_e64 v36, 20, v51, s6
	v_cmp_ne_u32_e64 s6, 1, v30
	v_or_b32_sdwa v51, v57, v54 dst_sel:DWORD dst_unused:UNUSED_PAD src0_sel:BYTE_0 src1_sel:DWORD
	v_or_b32_sdwa v36, v36, v47 dst_sel:WORD_1 dst_unused:UNUSED_PAD src0_sel:BYTE_0 src1_sel:DWORD
	v_cndmask_b32_e64 v42, 21, v43, s6
	v_cmp_ne_u32_e64 s6, 3, v30
	v_or_b32_sdwa v45, v51, v52 dst_sel:DWORD dst_unused:UNUSED_PAD src0_sel:WORD_0 src1_sel:DWORD
	v_or_b32_sdwa v47, v49, v50 dst_sel:DWORD dst_unused:UNUSED_PAD src0_sel:WORD_0 src1_sel:DWORD
	;; [unrolled: 1-line block ×3, first 2 shown]
	v_lshrrev_b32_e32 v43, 16, v20
	v_lshlrev_b16 v42, 8, v42
	v_cndmask_b32_e32 v21, v45, v21, vcc_lo
	v_cndmask_b32_e32 v22, v47, v22, vcc_lo
	;; [unrolled: 1-line block ×3, first 2 shown]
	v_lshrrev_b32_e32 v36, 24, v20
	v_cmp_ne_u32_e32 vcc_lo, 21, v30
	v_lshrrev_b32_e32 v51, 8, v21
	v_lshrrev_b32_e32 v47, 8, v22
	;; [unrolled: 1-line block ×3, first 2 shown]
	v_cndmask_b32_e64 v36, 21, v36, s6
	v_cmp_ne_u32_e64 s6, 0, v30
	v_cndmask_b32_e32 v41, 21, v41, vcc_lo
	v_cmp_ne_u32_e32 vcc_lo, 23, v30
	v_lshrrev_b32_e32 v49, 24, v22
	v_lshlrev_b16 v36, 8, v36
	v_cndmask_b32_e64 v44, 21, v20, s6
	v_cmp_ne_u32_e64 s6, 2, v30
	v_lshlrev_b16 v41, 8, v41
	v_lshrrev_b32_e32 v52, 24, v21
	v_lshrrev_b32_e32 v54, 16, v21
	v_or_b32_sdwa v42, v44, v42 dst_sel:DWORD dst_unused:UNUSED_PAD src0_sel:BYTE_0 src1_sel:DWORD
	v_cndmask_b32_e64 v43, 21, v43, s6
	v_lshrrev_b32_e32 v44, 24, v26
	v_lshrrev_b32_e32 v53, 16, v22
	v_cmp_ne_u32_e64 s6, 1, v27
	v_or_b32_sdwa v36, v43, v36 dst_sel:WORD_1 dst_unused:UNUSED_PAD src0_sel:BYTE_0 src1_sel:DWORD
	v_cndmask_b32_e32 v43, 21, v44, vcc_lo
	v_cmp_ne_u32_e32 vcc_lo, 20, v30
	v_lshrrev_b32_e32 v44, 16, v26
	v_or_b32_sdwa v36, v42, v36 dst_sel:DWORD dst_unused:UNUSED_PAD src0_sel:WORD_0 src1_sel:DWORD
	v_lshrrev_b32_e32 v42, 8, v24
	v_cndmask_b32_e32 v45, 21, v26, vcc_lo
	v_cmp_ne_u32_e32 vcc_lo, 22, v30
	v_lshlrev_b16 v43, 8, v43
	v_or_b32_sdwa v41, v45, v41 dst_sel:DWORD dst_unused:UNUSED_PAD src0_sel:BYTE_0 src1_sel:DWORD
	v_cndmask_b32_e32 v44, 21, v44, vcc_lo
	v_cmp_ne_u32_e32 vcc_lo, 17, v30
	v_lshrrev_b32_e32 v45, 24, v24
	v_or_b32_sdwa v43, v44, v43 dst_sel:WORD_1 dst_unused:UNUSED_PAD src0_sel:BYTE_0 src1_sel:DWORD
	v_cndmask_b32_e32 v42, 21, v42, vcc_lo
	v_cmp_ne_u32_e32 vcc_lo, 19, v30
	v_or_b32_sdwa v41, v41, v43 dst_sel:DWORD dst_unused:UNUSED_PAD src0_sel:WORD_0 src1_sel:DWORD
	v_lshlrev_b16 v42, 8, v42
	v_cndmask_b32_e32 v44, 21, v45, vcc_lo
	v_cmp_ne_u32_e32 vcc_lo, 16, v30
	v_lshrrev_b32_e32 v45, 16, v24
	v_lshrrev_b32_e32 v43, 8, v23
	v_lshlrev_b16 v44, 8, v44
	v_cndmask_b32_e32 v46, 21, v24, vcc_lo
	v_cmp_ne_u32_e32 vcc_lo, 18, v30
	v_or_b32_sdwa v42, v46, v42 dst_sel:DWORD dst_unused:UNUSED_PAD src0_sel:BYTE_0 src1_sel:DWORD
	v_cndmask_b32_e32 v45, 21, v45, vcc_lo
	v_cmp_ne_u32_e32 vcc_lo, 13, v30
	v_lshrrev_b32_e32 v46, 24, v23
	v_or_b32_sdwa v44, v45, v44 dst_sel:WORD_1 dst_unused:UNUSED_PAD src0_sel:BYTE_0 src1_sel:DWORD
	v_cndmask_b32_e32 v43, 21, v43, vcc_lo
	v_cmp_ne_u32_e32 vcc_lo, 15, v30
	v_lshlrev_b16 v43, 8, v43
	v_cndmask_b32_e32 v45, 21, v46, vcc_lo
	v_cmp_ne_u32_e32 vcc_lo, 12, v30
	v_lshlrev_b16 v45, 8, v45
	v_cndmask_b32_e32 v46, 21, v23, vcc_lo
	v_cmp_ne_u32_e32 vcc_lo, 9, v30
	v_or_b32_sdwa v43, v46, v43 dst_sel:DWORD dst_unused:UNUSED_PAD src0_sel:BYTE_0 src1_sel:DWORD
	v_cndmask_b32_e32 v47, 21, v47, vcc_lo
	v_cmp_ne_u32_e32 vcc_lo, 14, v30
	v_lshlrev_b16 v47, 8, v47
	v_cndmask_b32_e32 v48, 21, v48, vcc_lo
	v_cmp_ne_u32_e32 vcc_lo, 8, v30
	v_or_b32_sdwa v45, v48, v45 dst_sel:WORD_1 dst_unused:UNUSED_PAD src0_sel:BYTE_0 src1_sel:DWORD
	v_cndmask_b32_e32 v50, 21, v22, vcc_lo
	v_cmp_ne_u32_e32 vcc_lo, 11, v30
	v_or_b32_sdwa v46, v50, v47 dst_sel:DWORD dst_unused:UNUSED_PAD src0_sel:BYTE_0 src1_sel:DWORD
	v_cndmask_b32_e32 v49, 21, v49, vcc_lo
	v_cmp_ne_u32_e32 vcc_lo, 5, v30
	v_lshlrev_b16 v49, 8, v49
	v_cndmask_b32_e32 v51, 21, v51, vcc_lo
	v_cmp_ne_u32_e32 vcc_lo, 7, v30
	v_lshlrev_b16 v51, 8, v51
	;; [unrolled: 3-line block ×3, first 2 shown]
	v_cndmask_b32_e32 v55, 21, v21, vcc_lo
	v_cmp_ne_u32_e32 vcc_lo, 6, v30
	v_or_b32_sdwa v51, v55, v51 dst_sel:DWORD dst_unused:UNUSED_PAD src0_sel:BYTE_0 src1_sel:DWORD
	v_cndmask_b32_e32 v54, 21, v54, vcc_lo
	v_cmp_ne_u32_e32 vcc_lo, 10, v30
	v_or_b32_sdwa v52, v54, v52 dst_sel:WORD_1 dst_unused:UNUSED_PAD src0_sel:BYTE_0 src1_sel:DWORD
	v_cndmask_b32_e32 v30, 21, v53, vcc_lo
	v_cmp_eq_u32_e32 vcc_lo, 0, v35
	v_or_b32_sdwa v35, v42, v44 dst_sel:DWORD dst_unused:UNUSED_PAD src0_sel:WORD_0 src1_sel:DWORD
	v_or_b32_sdwa v47, v51, v52 dst_sel:DWORD dst_unused:UNUSED_PAD src0_sel:WORD_0 src1_sel:DWORD
	v_or_b32_sdwa v30, v30, v49 dst_sel:WORD_1 dst_unused:UNUSED_PAD src0_sel:BYTE_0 src1_sel:DWORD
	v_cndmask_b32_e32 v20, v36, v20, vcc_lo
	v_cndmask_b32_e32 v26, v41, v26, vcc_lo
	v_or_b32_sdwa v36, v43, v45 dst_sel:DWORD dst_unused:UNUSED_PAD src0_sel:WORD_0 src1_sel:DWORD
	v_cndmask_b32_e32 v21, v47, v21, vcc_lo
	v_or_b32_sdwa v30, v46, v30 dst_sel:DWORD dst_unused:UNUSED_PAD src0_sel:WORD_0 src1_sel:DWORD
	v_lshrrev_b32_e32 v42, 8, v20
	v_lshrrev_b32_e32 v43, 16, v20
	;; [unrolled: 1-line block ×3, first 2 shown]
	v_cndmask_b32_e32 v23, v36, v23, vcc_lo
	v_cndmask_b32_e32 v22, v30, v22, vcc_lo
	v_lshrrev_b32_e32 v30, 24, v20
	v_cndmask_b32_e64 v41, 22, v42, s6
	v_cmp_ne_u32_e64 s6, 3, v27
	v_cndmask_b32_e32 v24, v35, v24, vcc_lo
	v_cmp_ne_u32_e32 vcc_lo, 22, v27
	v_lshrrev_b32_e32 v46, 8, v23
	v_lshlrev_b16 v41, 8, v41
	v_cndmask_b32_e64 v30, 22, v30, s6
	v_cmp_ne_u32_e64 s6, 0, v27
	v_lshrrev_b32_e32 v45, 16, v24
	v_lshrrev_b32_e32 v47, 24, v23
	;; [unrolled: 1-line block ×3, first 2 shown]
	v_lshlrev_b16 v30, 8, v30
	v_cndmask_b32_e64 v42, 22, v20, s6
	v_cmp_ne_u32_e64 s6, 2, v27
	v_or_b32_sdwa v36, v42, v41 dst_sel:DWORD dst_unused:UNUSED_PAD src0_sel:BYTE_0 src1_sel:DWORD
	v_cndmask_b32_e64 v43, 22, v43, s6
	v_cmp_ne_u32_e64 s6, 21, v27
	v_lshrrev_b32_e32 v42, 24, v26
	v_or_b32_sdwa v30, v43, v30 dst_sel:WORD_1 dst_unused:UNUSED_PAD src0_sel:BYTE_0 src1_sel:DWORD
	v_cndmask_b32_e64 v41, 22, v44, s6
	v_cmp_ne_u32_e64 s6, 20, v27
	v_or_b32_sdwa v30, v36, v30 dst_sel:DWORD dst_unused:UNUSED_PAD src0_sel:WORD_0 src1_sel:DWORD
	v_lshlrev_b16 v41, 8, v41
	v_cndmask_b32_e64 v43, 22, v26, s6
	v_cmp_ne_u32_e64 s6, 23, v27
	v_lshrrev_b32_e32 v36, 16, v26
	v_or_b32_sdwa v35, v43, v41 dst_sel:DWORD dst_unused:UNUSED_PAD src0_sel:BYTE_0 src1_sel:DWORD
	v_cndmask_b32_e64 v42, 22, v42, s6
	v_cndmask_b32_e32 v36, 22, v36, vcc_lo
	v_cmp_ne_u32_e32 vcc_lo, 17, v27
	v_lshrrev_b32_e32 v43, 24, v24
	v_cmp_ne_u32_e64 s6, 10, v27
	v_lshlrev_b16 v41, 8, v42
	v_lshrrev_b32_e32 v42, 8, v24
	v_or_b32_sdwa v36, v36, v41 dst_sel:WORD_1 dst_unused:UNUSED_PAD src0_sel:BYTE_0 src1_sel:DWORD
	v_cndmask_b32_e32 v42, 22, v42, vcc_lo
	v_cmp_ne_u32_e32 vcc_lo, 19, v27
	v_or_b32_sdwa v35, v35, v36 dst_sel:DWORD dst_unused:UNUSED_PAD src0_sel:WORD_0 src1_sel:DWORD
	v_lshlrev_b16 v42, 8, v42
	v_cndmask_b32_e32 v43, 22, v43, vcc_lo
	v_cmp_ne_u32_e32 vcc_lo, 16, v27
	v_lshrrev_b32_e32 v36, 8, v22
	v_lshlrev_b16 v43, 8, v43
	v_cndmask_b32_e32 v44, 22, v24, vcc_lo
	v_cmp_ne_u32_e32 vcc_lo, 18, v27
	v_or_b32_sdwa v41, v44, v42 dst_sel:DWORD dst_unused:UNUSED_PAD src0_sel:BYTE_0 src1_sel:DWORD
	v_cndmask_b32_e32 v45, 22, v45, vcc_lo
	v_cmp_ne_u32_e32 vcc_lo, 13, v27
	v_or_b32_sdwa v42, v45, v43 dst_sel:WORD_1 dst_unused:UNUSED_PAD src0_sel:BYTE_0 src1_sel:DWORD
	v_cndmask_b32_e32 v46, 22, v46, vcc_lo
	v_cmp_ne_u32_e32 vcc_lo, 15, v27
	v_lshrrev_b32_e32 v45, 8, v21
	v_or_b32_sdwa v41, v41, v42 dst_sel:DWORD dst_unused:UNUSED_PAD src0_sel:WORD_0 src1_sel:DWORD
	v_lshlrev_b16 v46, 8, v46
	v_cndmask_b32_e32 v47, 22, v47, vcc_lo
	v_cmp_ne_u32_e32 vcc_lo, 12, v27
	v_lshrrev_b32_e32 v42, 24, v22
	v_lshlrev_b16 v47, 8, v47
	v_cndmask_b32_e32 v49, 22, v23, vcc_lo
	v_cmp_ne_u32_e32 vcc_lo, 14, v27
	v_or_b32_sdwa v43, v49, v46 dst_sel:DWORD dst_unused:UNUSED_PAD src0_sel:BYTE_0 src1_sel:DWORD
	v_cndmask_b32_e32 v48, 22, v48, vcc_lo
	v_cmp_ne_u32_e32 vcc_lo, 9, v27
	v_lshrrev_b32_e32 v46, 24, v21
	v_or_b32_sdwa v44, v48, v47 dst_sel:WORD_1 dst_unused:UNUSED_PAD src0_sel:BYTE_0 src1_sel:DWORD
	v_cndmask_b32_e32 v36, 22, v36, vcc_lo
	v_cmp_ne_u32_e32 vcc_lo, 11, v27
	v_lshrrev_b32_e32 v48, 16, v21
	v_lshrrev_b32_e32 v47, 16, v22
	v_or_b32_sdwa v43, v43, v44 dst_sel:DWORD dst_unused:UNUSED_PAD src0_sel:WORD_0 src1_sel:DWORD
	v_lshlrev_b16 v36, 8, v36
	v_cndmask_b32_e32 v42, 22, v42, vcc_lo
	v_cmp_ne_u32_e32 vcc_lo, 8, v27
	v_lshlrev_b16 v42, 8, v42
	v_cndmask_b32_e32 v44, 22, v22, vcc_lo
	v_cmp_ne_u32_e32 vcc_lo, 5, v27
	v_or_b32_sdwa v36, v44, v36 dst_sel:DWORD dst_unused:UNUSED_PAD src0_sel:BYTE_0 src1_sel:DWORD
	v_cndmask_b32_e32 v45, 22, v45, vcc_lo
	v_cmp_ne_u32_e32 vcc_lo, 7, v27
	v_lshlrev_b16 v45, 8, v45
	v_cndmask_b32_e32 v46, 22, v46, vcc_lo
	v_cmp_ne_u32_e32 vcc_lo, 4, v27
	v_lshlrev_b16 v46, 8, v46
	v_cndmask_b32_e32 v49, 22, v21, vcc_lo
	v_cmp_ne_u32_e32 vcc_lo, 6, v27
	v_cndmask_b32_e64 v27, 22, v47, s6
	v_cmp_ne_u32_e64 s6, 1, v25
	v_cndmask_b32_e32 v48, 22, v48, vcc_lo
	v_cmp_eq_u32_e32 vcc_lo, 0, v29
	v_or_b32_sdwa v29, v49, v45 dst_sel:DWORD dst_unused:UNUSED_PAD src0_sel:BYTE_0 src1_sel:DWORD
	v_or_b32_sdwa v27, v27, v42 dst_sel:WORD_1 dst_unused:UNUSED_PAD src0_sel:BYTE_0 src1_sel:DWORD
	v_cndmask_b32_e32 v20, v30, v20, vcc_lo
	v_or_b32_sdwa v30, v48, v46 dst_sel:WORD_1 dst_unused:UNUSED_PAD src0_sel:BYTE_0 src1_sel:DWORD
	v_or_b32_sdwa v27, v36, v27 dst_sel:DWORD dst_unused:UNUSED_PAD src0_sel:WORD_0 src1_sel:DWORD
	v_cndmask_b32_e32 v26, v35, v26, vcc_lo
	v_cndmask_b32_e32 v35, v43, v23, vcc_lo
	v_lshrrev_b32_e32 v44, 8, v20
	v_lshrrev_b32_e32 v42, 24, v20
	v_or_b32_sdwa v29, v29, v30 dst_sel:DWORD dst_unused:UNUSED_PAD src0_sel:WORD_0 src1_sel:DWORD
	v_cndmask_b32_e32 v27, v27, v22, vcc_lo
	v_lshrrev_b32_e32 v22, 8, v26
	v_cndmask_b32_e64 v30, 23, v44, s6
	v_cmp_ne_u32_e64 s6, 3, v25
	v_lshrrev_b32_e32 v44, 16, v20
	v_lshrrev_b32_e32 v23, 24, v26
	v_cndmask_b32_e32 v36, v41, v24, vcc_lo
	v_lshlrev_b16 v30, 8, v30
	v_cndmask_b32_e64 v42, 23, v42, s6
	v_cmp_ne_u32_e64 s6, 0, v25
	v_cndmask_b32_e32 v29, v29, v21, vcc_lo
	v_cmp_eq_u32_e32 vcc_lo, 0, v28
	v_lshrrev_b32_e32 v28, 8, v36
	v_lshlrev_b16 v42, 8, v42
	v_cndmask_b32_e64 v45, 23, v20, s6
	v_cmp_ne_u32_e64 s6, 2, v25
	v_lshrrev_b32_e32 v41, 24, v36
	v_lshrrev_b32_e32 v47, 16, v27
	;; [unrolled: 1-line block ×3, first 2 shown]
	v_or_b32_sdwa v21, v45, v30 dst_sel:DWORD dst_unused:UNUSED_PAD src0_sel:BYTE_0 src1_sel:DWORD
	v_cndmask_b32_e64 v44, 23, v44, s6
	v_cmp_ne_u32_e64 s6, 21, v25
	v_lshrrev_b32_e32 v49, 24, v29
	v_lshrrev_b32_e32 v50, 16, v29
	;; [unrolled: 1-line block ×3, first 2 shown]
	v_or_b32_sdwa v30, v44, v42 dst_sel:WORD_1 dst_unused:UNUSED_PAD src0_sel:BYTE_0 src1_sel:DWORD
	v_cndmask_b32_e64 v22, 23, v22, s6
	v_cmp_ne_u32_e64 s6, 23, v25
	v_lshrrev_b32_e32 v44, 24, v27
	v_or_b32_sdwa v21, v21, v30 dst_sel:DWORD dst_unused:UNUSED_PAD src0_sel:WORD_0 src1_sel:DWORD
	v_lshrrev_b32_e32 v30, 16, v26
	v_cndmask_b32_e64 v23, 23, v23, s6
	v_cmp_ne_u32_e64 s6, 20, v25
	v_lshlrev_b16 v22, 8, v22
	v_cndmask_b32_e32 v21, v21, v20, vcc_lo
	v_mov_b32_e32 v20, 0
	v_lshlrev_b16 v23, 8, v23
	v_cndmask_b32_e64 v24, 23, v26, s6
	v_cmp_ne_u32_e64 s6, 17, v25
	v_lshrrev_b32_e32 v63, 8, v21
	v_or_b32_sdwa v22, v24, v22 dst_sel:DWORD dst_unused:UNUSED_PAD src0_sel:BYTE_0 src1_sel:DWORD
	v_cndmask_b32_e64 v28, 23, v28, s6
	v_cmp_ne_u32_e64 s6, 22, v25
	v_lshrrev_b32_e32 v24, 8, v35
	v_lshlrev_b16 v28, 8, v28
	v_cndmask_b32_e64 v30, 23, v30, s6
	v_cmp_ne_u32_e64 s6, 16, v25
	v_or_b32_sdwa v23, v30, v23 dst_sel:WORD_1 dst_unused:UNUSED_PAD src0_sel:BYTE_0 src1_sel:DWORD
	v_cndmask_b32_e64 v42, 23, v36, s6
	v_cmp_ne_u32_e64 s6, 19, v25
	v_or_b32_sdwa v28, v42, v28 dst_sel:DWORD dst_unused:UNUSED_PAD src0_sel:BYTE_0 src1_sel:DWORD
	v_cndmask_b32_e64 v41, 23, v41, s6
	v_cmp_ne_u32_e64 s6, 13, v25
	v_lshrrev_b32_e32 v42, 24, v35
	v_lshlrev_b16 v30, 8, v41
	v_cndmask_b32_e64 v24, 23, v24, s6
	v_cmp_ne_u32_e64 s6, 12, v25
	v_lshrrev_b32_e32 v41, 16, v36
	v_lshlrev_b16 v24, 8, v24
	v_cndmask_b32_e64 v43, 23, v35, s6
	v_cmp_ne_u32_e64 s6, 15, v25
	v_or_b32_sdwa v24, v43, v24 dst_sel:DWORD dst_unused:UNUSED_PAD src0_sel:BYTE_0 src1_sel:DWORD
	v_cndmask_b32_e64 v42, 23, v42, s6
	v_cmp_ne_u32_e64 s6, 18, v25
	v_lshrrev_b32_e32 v43, 8, v27
	v_lshlrev_b16 v42, 8, v42
	v_cndmask_b32_e64 v41, 23, v41, s6
	v_cmp_ne_u32_e64 s6, 9, v25
	v_or_b32_sdwa v30, v41, v30 dst_sel:WORD_1 dst_unused:UNUSED_PAD src0_sel:BYTE_0 src1_sel:DWORD
	v_cndmask_b32_e64 v43, 23, v43, s6
	v_cmp_ne_u32_e64 s6, 11, v25
	v_or_b32_sdwa v41, v22, v23 dst_sel:DWORD dst_unused:UNUSED_PAD src0_sel:WORD_0 src1_sel:DWORD
	v_lshlrev_b16 v43, 8, v43
	v_cndmask_b32_e64 v44, 23, v44, s6
	v_cmp_ne_u32_e64 s6, 8, v25
	v_cndmask_b32_e32 v26, v41, v26, vcc_lo
	v_lshlrev_b16 v44, 8, v44
	v_cndmask_b32_e64 v46, 23, v27, s6
	v_cmp_ne_u32_e64 s6, 10, v25
	v_lshrrev_b32_e32 v73, 8, v26
	v_or_b32_sdwa v43, v46, v43 dst_sel:DWORD dst_unused:UNUSED_PAD src0_sel:BYTE_0 src1_sel:DWORD
	v_cndmask_b32_e64 v47, 23, v47, s6
	v_cmp_ne_u32_e64 s6, 5, v25
	v_or_b32_sdwa v44, v47, v44 dst_sel:WORD_1 dst_unused:UNUSED_PAD src0_sel:BYTE_0 src1_sel:DWORD
	v_cndmask_b32_e64 v48, 23, v48, s6
	v_cmp_ne_u32_e64 s6, 7, v25
	v_or_b32_sdwa v23, v43, v44 dst_sel:DWORD dst_unused:UNUSED_PAD src0_sel:WORD_0 src1_sel:DWORD
	v_lshlrev_b16 v48, 8, v48
	v_cndmask_b32_e64 v49, 23, v49, s6
	v_cmp_ne_u32_e64 s6, 4, v25
	v_cndmask_b32_e32 v23, v23, v27, vcc_lo
	v_lshlrev_b16 v49, 8, v49
	v_cndmask_b32_e64 v51, 23, v29, s6
	v_cmp_ne_u32_e64 s6, 6, v25
	v_lshrrev_b32_e32 v66, 16, v23
	v_lshrrev_b32_e32 v67, 8, v23
	v_cndmask_b32_e64 v50, 23, v50, s6
	v_cmp_ne_u32_e64 s6, 14, v25
	v_or_b32_sdwa v46, v50, v49 dst_sel:WORD_1 dst_unused:UNUSED_PAD src0_sel:BYTE_0 src1_sel:DWORD
	v_cndmask_b32_e64 v25, 23, v45, s6
	v_or_b32_sdwa v45, v51, v48 dst_sel:DWORD dst_unused:UNUSED_PAD src0_sel:BYTE_0 src1_sel:DWORD
	s_mov_b64 s[6:7], 0
	v_or_b32_sdwa v25, v25, v42 dst_sel:WORD_1 dst_unused:UNUSED_PAD src0_sel:BYTE_0 src1_sel:DWORD
	v_or_b32_sdwa v22, v45, v46 dst_sel:DWORD dst_unused:UNUSED_PAD src0_sel:WORD_0 src1_sel:DWORD
	v_or_b32_sdwa v24, v24, v25 dst_sel:DWORD dst_unused:UNUSED_PAD src0_sel:WORD_0 src1_sel:DWORD
	;; [unrolled: 1-line block ×3, first 2 shown]
	v_cndmask_b32_e32 v22, v22, v29, vcc_lo
	v_cndmask_b32_e32 v24, v24, v35, vcc_lo
	;; [unrolled: 1-line block ×3, first 2 shown]
	v_lshrrev_b64 v[27:28], 24, v[21:22]
	v_lshrrev_b32_e32 v64, 16, v22
	v_lshrrev_b32_e32 v65, 8, v22
	v_lshrrev_b64 v[28:29], 24, v[23:24]
	v_lshrrev_b64 v[29:30], 24, v[25:26]
	v_lshrrev_b32_e32 v30, 24, v22
	v_lshrrev_b32_e32 v68, 24, v24
	;; [unrolled: 1-line block ×6, first 2 shown]
	s_branch .LBB0_317
.LBB0_315:                              ;   in Loop: Header=BB0_317 Depth=1
	s_or_b32 exec_lo, exec_lo, s13
	v_mov_b32_e32 v78, v75
	v_mov_b32_e32 v75, v77
.LBB0_316:                              ;   in Loop: Header=BB0_317 Depth=1
	s_or_b32 exec_lo, exec_lo, s12
	v_lshl_add_u32 v87, v75, 3, 0xd0
	v_lshl_add_u32 v78, v78, 3, 0xd0
	s_waitcnt vmcnt(20)
	v_add_f64 v[35:36], v[35:36], v[45:46]
	s_waitcnt vmcnt(12)
	v_add_f64 v[45:46], v[47:48], v[49:50]
	s_add_u32 s6, s6, 1
	s_clause 0xb
	buffer_load_dword v76, v87, s[0:3], 0 offen offset:68
	buffer_load_dword v77, v87, s[0:3], 0 offen offset:128
	;; [unrolled: 1-line block ×3, first 2 shown]
	buffer_load_dword v79, v87, s[0:3], 0 offen
	buffer_load_dword v82, v78, s[0:3], 0 offen offset:68
	buffer_load_dword v83, v78, s[0:3], 0 offen offset:128
	;; [unrolled: 1-line block ×5, first 2 shown]
	buffer_load_dword v85, v78, s[0:3], 0 offen
	buffer_load_dword v86, v78, s[0:3], 0 offen offset:4
	buffer_load_dword v78, v87, s[0:3], 0 offen offset:132
	s_addc_u32 s7, s7, 0
	v_cmp_eq_u64_e32 vcc_lo, s[6:7], v[19:20]
	s_or_b32 s11, vcc_lo, s11
	v_add_f64 v[35:36], v[35:36], v[43:44]
	s_waitcnt vmcnt(20)
	v_add_f64 v[43:44], v[53:54], v[51:52]
	s_waitcnt vmcnt(18)
	v_add_f64 v[45:46], v[45:46], v[59:60]
	v_add_f64 v[35:36], v[35:36], v[41:42]
	s_waitcnt vmcnt(12)
	v_add_f64 v[41:42], v[43:44], v[61:62]
	v_add_f64 v[43:44], v[45:46], v[55:56]
	v_fma_f64 v[35:36], 0x3fd00000, v[35:36], -v[1:2]
	v_add_f64 v[47:48], v[41:42], v[57:58]
	v_fma_f64 v[41:42], 0x3fd00000, v[43:44], -v[5:6]
	v_mul_f64 v[35:36], v[33:34], v[35:36]
	v_fma_f64 v[43:44], 0x3fd00000, v[47:48], -v[9:10]
	s_waitcnt vmcnt(5)
	v_add_f64 v[49:50], v[81:82], -v[5:6]
	s_waitcnt vmcnt(4)
	v_add_f64 v[51:52], v[79:80], -v[1:2]
	;; [unrolled: 2-line block ×4, first 2 shown]
	v_add_f64 v[45:46], v[75:76], -v[5:6]
	s_waitcnt vmcnt(0)
	v_add_f64 v[61:62], v[77:78], -v[9:10]
	v_mul_f64 v[55:56], v[7:8], v[49:50]
	v_fma_f64 v[57:58], -v[33:34], v[51:52], v[35:36]
	v_add_f64 v[75:76], v[43:44], v[47:48]
	v_fma_f64 v[87:88], v[33:34], v[51:52], v[35:36]
	v_mul_f64 v[77:78], v[33:34], v[53:54]
	v_mul_f64 v[45:46], v[7:8], v[45:46]
	v_fma_f64 v[79:80], v[33:34], v[53:54], v[35:36]
	v_fma_f64 v[53:54], v[33:34], v[53:54], -v[35:36]
	v_add_f64 v[83:84], v[43:44], v[61:62]
	v_add_f64 v[89:90], v[47:48], v[61:62]
	v_fma_f64 v[81:82], v[7:8], v[41:42], v[55:56]
	v_mul_f64 v[85:86], v[75:76], 0.5
	v_fma_f64 v[75:76], v[75:76], 0.5, 0
	v_fma_f64 v[91:92], v[33:34], v[51:52], -v[77:78]
	v_fma_f64 v[59:60], v[7:8], v[41:42], v[45:46]
	v_fma_f64 v[79:80], v[37:38], v[79:80], v[1:2]
	;; [unrolled: 1-line block ×4, first 2 shown]
	v_mul_f64 v[95:96], v[89:90], 0.5
	v_fma_f64 v[97:98], v[33:34], v[51:52], v[77:78]
	v_mul_f64 v[51:52], v[33:34], v[51:52]
	v_fma_f64 v[93:94], v[85:86], 0.5, v[9:10]
	v_fma_f64 v[75:76], v[83:84], 0.5, v[75:76]
	v_mul_f64 v[57:58], v[57:58], v[59:60]
	v_fma_f64 v[79:80], v[79:80], v[85:86], 0
	v_fma_f64 v[59:60], v[39:40], v[59:60], v[5:6]
	ds_write2_b64 v0, v[77:78], v[51:52] offset1:2
	ds_write2_b64 v0, v[55:56], v[45:46] offset0:10 offset1:12
	ds_write2_b64 v0, v[47:48], v[61:62] offset0:20 offset1:22
	v_fma_f64 v[75:76], v[89:90], 0.5, v[75:76]
	v_fma_f64 v[53:54], v[53:54], v[81:82], v[57:58]
	v_mul_f64 v[57:58], v[83:84], 0.5
	v_fma_f64 v[81:82], v[39:40], v[81:82], v[5:6]
	v_fma_f64 v[83:84], v[37:38], v[97:98], v[1:2]
	;; [unrolled: 1-line block ×3, first 2 shown]
	v_fma_f64 v[91:92], v[57:58], 0.5, v[9:10]
	v_fma_f64 v[81:82], v[81:82], v[85:86], 0
	v_fma_f64 v[85:86], v[85:86], v[93:94], 0
	;; [unrolled: 1-line block ×3, first 2 shown]
	v_fma_f64 v[93:94], v[95:96], 0.5, v[9:10]
	v_fma_f64 v[79:80], v[87:88], v[57:58], v[79:80]
	v_mul_f64 v[53:54], v[53:54], 0.5
	v_fma_f64 v[59:60], v[59:60], v[57:58], v[81:82]
	v_fma_f64 v[57:58], v[57:58], v[91:92], v[85:86]
	;; [unrolled: 1-line block ×3, first 2 shown]
	v_mul_f64 v[53:54], v[53:54], s[8:9]
	v_fma_f64 v[49:50], v[49:50], v[95:96], v[59:60]
	v_fma_f64 v[57:58], v[95:96], v[93:94], v[57:58]
	;; [unrolled: 1-line block ×10, first 2 shown]
	s_andn2_b32 exec_lo, exec_lo, s11
	s_cbranch_execz .LBB0_342
.LBB0_317:                              ; =>This Inner Loop Header: Depth=1
	s_cmp_eq_u32 s6, 1
	s_mov_b32 s12, exec_lo
	s_cselect_b32 vcc_lo, -1, 0
	s_cmp_eq_u32 s6, 2
	v_cndmask_b32_e32 v35, v21, v63, vcc_lo
	s_cselect_b32 vcc_lo, -1, 0
	s_cmp_eq_u32 s6, 3
                                        ; implicit-def: $vgpr79
                                        ; implicit-def: $vgpr42
                                        ; implicit-def: $vgpr76
                                        ; implicit-def: $vgpr41
                                        ; implicit-def: $vgpr77
                                        ; implicit-def: $vgpr43
                                        ; implicit-def: $vgpr36
	v_cndmask_b32_sdwa v35, v35, v21, vcc_lo dst_sel:DWORD dst_unused:UNUSED_PAD src0_sel:DWORD src1_sel:WORD_1
	s_cselect_b32 vcc_lo, -1, 0
	s_cmp_eq_u32 s6, 4
	v_cndmask_b32_e32 v35, v35, v27, vcc_lo
	s_cselect_b32 vcc_lo, -1, 0
	s_cmp_eq_u32 s6, 5
	v_cndmask_b32_e32 v35, v35, v22, vcc_lo
	s_cselect_b32 vcc_lo, -1, 0
	s_cmp_eq_u32 s6, 6
	v_cndmask_b32_e32 v35, v35, v65, vcc_lo
	s_cselect_b32 vcc_lo, -1, 0
	s_cmp_eq_u32 s6, 7
	v_cndmask_b32_e32 v35, v35, v64, vcc_lo
	s_cselect_b32 vcc_lo, -1, 0
	s_cmp_eq_u32 s6, 8
	v_cndmask_b32_e32 v35, v35, v30, vcc_lo
	s_cselect_b32 vcc_lo, -1, 0
	s_cmp_eq_u32 s6, 9
	v_cndmask_b32_e32 v35, v35, v23, vcc_lo
	s_cselect_b32 vcc_lo, -1, 0
	s_cmp_eq_u32 s6, 10
	v_cndmask_b32_e32 v35, v35, v67, vcc_lo
	s_cselect_b32 vcc_lo, -1, 0
	s_cmp_eq_u32 s6, 11
	v_cndmask_b32_e32 v35, v35, v66, vcc_lo
	s_cselect_b32 vcc_lo, -1, 0
	s_cmp_eq_u32 s6, 12
	v_cndmask_b32_e32 v35, v35, v28, vcc_lo
	s_cselect_b32 vcc_lo, -1, 0
	s_cmp_eq_u32 s6, 13
	v_cndmask_b32_e32 v35, v35, v24, vcc_lo
	s_cselect_b32 vcc_lo, -1, 0
	s_cmp_eq_u32 s6, 14
	v_cndmask_b32_e32 v35, v35, v70, vcc_lo
	s_cselect_b32 vcc_lo, -1, 0
	s_cmp_eq_u32 s6, 15
	v_cndmask_b32_e32 v35, v35, v69, vcc_lo
	s_cselect_b32 vcc_lo, -1, 0
	s_cmp_eq_u32 s6, 16
	v_cndmask_b32_e32 v35, v35, v68, vcc_lo
	s_cselect_b32 vcc_lo, -1, 0
	s_cmp_eq_u32 s6, 17
	v_cndmask_b32_e32 v35, v35, v25, vcc_lo
	s_cselect_b32 vcc_lo, -1, 0
	s_cmp_eq_u32 s6, 18
	v_cndmask_b32_e32 v35, v35, v72, vcc_lo
	s_cselect_b32 vcc_lo, -1, 0
	s_cmp_eq_u32 s6, 19
	v_cndmask_b32_e32 v35, v35, v71, vcc_lo
	s_cselect_b32 vcc_lo, -1, 0
	s_cmp_eq_u32 s6, 20
	v_cndmask_b32_e32 v35, v35, v29, vcc_lo
	s_cselect_b32 vcc_lo, -1, 0
	s_cmp_eq_u32 s6, 21
	v_cndmask_b32_e32 v35, v35, v26, vcc_lo
	s_cselect_b32 vcc_lo, -1, 0
	s_cmp_eq_u32 s6, 22
	v_cndmask_b32_e32 v35, v35, v73, vcc_lo
	s_cselect_b32 vcc_lo, -1, 0
	s_cmp_eq_u32 s6, 23
	v_cndmask_b32_sdwa v35, v35, v26, vcc_lo dst_sel:DWORD dst_unused:UNUSED_PAD src0_sel:DWORD src1_sel:WORD_1
	s_cselect_b32 vcc_lo, -1, 0
	v_cndmask_b32_sdwa v78, v35, v26, vcc_lo dst_sel:DWORD dst_unused:UNUSED_PAD src0_sel:DWORD src1_sel:BYTE_3
	v_bfe_u32 v75, v78, 2, 6
	v_cmpx_lt_i32_e32 1, v75
	s_xor_b32 s12, exec_lo, s12
	s_cbranch_execz .LBB0_329
; %bb.318:                              ;   in Loop: Header=BB0_317 Depth=1
	s_mov_b32 s13, exec_lo
                                        ; implicit-def: $vgpr79
                                        ; implicit-def: $vgpr42
                                        ; implicit-def: $vgpr76
                                        ; implicit-def: $vgpr41
                                        ; implicit-def: $vgpr77
                                        ; implicit-def: $vgpr43
                                        ; implicit-def: $vgpr36
	v_cmpx_lt_i32_e32 2, v75
	s_xor_b32 s13, exec_lo, s13
	s_cbranch_execz .LBB0_326
; %bb.319:                              ;   in Loop: Header=BB0_317 Depth=1
	s_mov_b32 s14, exec_lo
                                        ; implicit-def: $vgpr79
                                        ; implicit-def: $vgpr42
                                        ; implicit-def: $vgpr76
                                        ; implicit-def: $vgpr41
                                        ; implicit-def: $vgpr77
                                        ; implicit-def: $vgpr43
                                        ; implicit-def: $vgpr36
	v_cmpx_lt_i32_e32 3, v75
	s_xor_b32 s14, exec_lo, s14
	s_cbranch_execz .LBB0_323
; %bb.320:                              ;   in Loop: Header=BB0_317 Depth=1
	s_mov_b32 s15, exec_lo
	v_cmpx_ne_u32_e32 4, v75
	s_xor_b32 s15, exec_lo, s15
	s_or_saveexec_b32 s15, s15
	v_mov_b32_e32 v75, 4
	v_mov_b32_e32 v77, 6
	;; [unrolled: 1-line block ×8, first 2 shown]
	s_xor_b32 exec_lo, exec_lo, s15
	s_cbranch_execz .LBB0_322
; %bb.321:                              ;   in Loop: Header=BB0_317 Depth=1
	v_mov_b32_e32 v75, 0
	v_mov_b32_e32 v77, 1
	;; [unrolled: 1-line block ×8, first 2 shown]
.LBB0_322:                              ;   in Loop: Header=BB0_317 Depth=1
	s_or_b32 exec_lo, exec_lo, s15
.LBB0_323:                              ;   in Loop: Header=BB0_317 Depth=1
	s_andn2_saveexec_b32 s14, s14
	s_cbranch_execz .LBB0_325
; %bb.324:                              ;   in Loop: Header=BB0_317 Depth=1
	v_mov_b32_e32 v75, 2
	v_mov_b32_e32 v77, 3
	v_mov_b32_e32 v76, 7
	v_mov_b32_e32 v79, 6
	v_mov_b32_e32 v42, s23
	v_mov_b32_e32 v41, s26
	v_mov_b32_e32 v43, s21
	v_mov_b32_e32 v36, s24
.LBB0_325:                              ;   in Loop: Header=BB0_317 Depth=1
	s_or_b32 exec_lo, exec_lo, s14
.LBB0_326:                              ;   in Loop: Header=BB0_317 Depth=1
	s_andn2_saveexec_b32 s13, s13
	s_cbranch_execz .LBB0_328
; %bb.327:                              ;   in Loop: Header=BB0_317 Depth=1
	v_mov_b32_e32 v75, 0
	v_mov_b32_e32 v77, 4
	;; [unrolled: 1-line block ×8, first 2 shown]
.LBB0_328:                              ;   in Loop: Header=BB0_317 Depth=1
	s_or_b32 exec_lo, exec_lo, s13
.LBB0_329:                              ;   in Loop: Header=BB0_317 Depth=1
	s_andn2_saveexec_b32 s12, s12
	s_cbranch_execz .LBB0_333
; %bb.330:                              ;   in Loop: Header=BB0_317 Depth=1
	v_mov_b32_e32 v77, 2
	v_mov_b32_e32 v76, 6
	v_mov_b32_e32 v79, 4
	v_mov_b32_e32 v36, 0xd0
	v_mov_b32_e32 v42, s25
	v_mov_b32_e32 v41, s23
	v_mov_b32_e32 v43, s24
	s_mov_b32 s13, exec_lo
	v_cmpx_lt_i32_e32 0, v75
	s_cbranch_execz .LBB0_332
; %bb.331:                              ;   in Loop: Header=BB0_317 Depth=1
	v_mov_b32_e32 v75, 1
	v_mov_b32_e32 v77, 5
	v_mov_b32_e32 v76, 7
	v_mov_b32_e32 v79, 3
	v_mov_b32_e32 v42, s21
	v_mov_b32_e32 v41, s26
	v_mov_b32_e32 v43, s20
	v_mov_b32_e32 v36, s22
.LBB0_332:                              ;   in Loop: Header=BB0_317 Depth=1
	s_or_b32 exec_lo, exec_lo, s13
.LBB0_333:                              ;   in Loop: Header=BB0_317 Depth=1
	s_or_b32 exec_lo, exec_lo, s12
	v_lshl_add_u32 v53, v75, 3, 0xd0
	v_lshl_add_u32 v51, v77, 3, 0xd0
	;; [unrolled: 1-line block ×4, first 2 shown]
	s_clause 0x17
	buffer_load_dword v35, v36, s[0:3], 0 offen
	buffer_load_dword v36, v36, s[0:3], 0 offen offset:4
	buffer_load_dword v45, v43, s[0:3], 0 offen
	buffer_load_dword v46, v43, s[0:3], 0 offen offset:4
	;; [unrolled: 2-line block ×4, first 2 shown]
	buffer_load_dword v47, v53, s[0:3], 0 offen offset:64
	buffer_load_dword v48, v53, s[0:3], 0 offen offset:68
	;; [unrolled: 1-line block ×16, first 2 shown]
	v_and_b32_sdwa v80, v78, v74 dst_sel:DWORD dst_unused:UNUSED_PAD src0_sel:BYTE_0 src1_sel:DWORD
	s_mov_b32 s12, exec_lo
                                        ; implicit-def: $vgpr78
	v_cmpx_lt_i32_e32 1, v80
	s_xor_b32 s12, exec_lo, s12
	s_cbranch_execz .LBB0_339
; %bb.334:                              ;   in Loop: Header=BB0_317 Depth=1
	s_mov_b32 s13, exec_lo
	v_cmpx_lt_i32_e32 2, v80
	s_xor_b32 s13, exec_lo, s13
; %bb.335:                              ;   in Loop: Header=BB0_317 Depth=1
                                        ; implicit-def: $vgpr76
; %bb.336:                              ;   in Loop: Header=BB0_317 Depth=1
	s_or_saveexec_b32 s13, s13
	v_mov_b32_e32 v78, v79
	s_xor_b32 exec_lo, exec_lo, s13
; %bb.337:                              ;   in Loop: Header=BB0_317 Depth=1
	v_mov_b32_e32 v78, v76
	v_mov_b32_e32 v75, v79
; %bb.338:                              ;   in Loop: Header=BB0_317 Depth=1
	s_or_b32 exec_lo, exec_lo, s13
                                        ; implicit-def: $vgpr77
                                        ; implicit-def: $vgpr76
                                        ; implicit-def: $vgpr80
.LBB0_339:                              ;   in Loop: Header=BB0_317 Depth=1
	s_andn2_saveexec_b32 s12, s12
	s_cbranch_execz .LBB0_316
; %bb.340:                              ;   in Loop: Header=BB0_317 Depth=1
	s_mov_b32 s13, exec_lo
	v_cmpx_eq_u32_e32 1, v80
	s_cbranch_execz .LBB0_315
; %bb.341:                              ;   in Loop: Header=BB0_317 Depth=1
	v_mov_b32_e32 v75, v77
	v_mov_b32_e32 v77, v76
	s_branch .LBB0_315
.LBB0_342:
	s_or_b32 exec_lo, exec_lo, s11
	v_mul_f64 v[1:2], v[7:8], v[41:42]
	ds_write2_b64 v0, v[35:36], v[1:2] offset0:1 offset1:11
	ds_write_b64 v0, v[43:44] offset:168
.LBB0_343:
	s_or_b32 exec_lo, exec_lo, s10
	s_load_dwordx2 s[4:5], s[4:5], 0x40
	v_lshlrev_b64 v[0:1], 5, v[31:32]
	s_waitcnt lgkmcnt(0)
	v_add_co_u32 v0, vcc_lo, s4, v0
	v_add_co_ci_u32_e64 v1, null, s5, v1, vcc_lo
	global_store_dwordx4 v[0:1], v[15:18], off
	global_store_dwordx4 v[0:1], v[11:14], off offset:16
.LBB0_344:
	s_endpgm
	.section	.rodata,"a",@progbits
	.p2align	6, 0x0
	.amdhsa_kernel _ZN8rajaperf4apps17intsc_hexrect_hipILm64EEEvPdS2_S2_PiPcS3_S3_lS2_
		.amdhsa_group_segment_fixed_size 15872
		.amdhsa_private_segment_fixed_size 416
		.amdhsa_kernarg_size 72
		.amdhsa_user_sgpr_count 6
		.amdhsa_user_sgpr_private_segment_buffer 1
		.amdhsa_user_sgpr_dispatch_ptr 0
		.amdhsa_user_sgpr_queue_ptr 0
		.amdhsa_user_sgpr_kernarg_segment_ptr 1
		.amdhsa_user_sgpr_dispatch_id 0
		.amdhsa_user_sgpr_flat_scratch_init 0
		.amdhsa_user_sgpr_private_segment_size 0
		.amdhsa_wavefront_size32 1
		.amdhsa_uses_dynamic_stack 0
		.amdhsa_system_sgpr_private_segment_wavefront_offset 1
		.amdhsa_system_sgpr_workgroup_id_x 1
		.amdhsa_system_sgpr_workgroup_id_y 0
		.amdhsa_system_sgpr_workgroup_id_z 0
		.amdhsa_system_sgpr_workgroup_info 0
		.amdhsa_system_vgpr_workitem_id 0
		.amdhsa_next_free_vgpr 193
		.amdhsa_next_free_sgpr 28
		.amdhsa_reserve_vcc 1
		.amdhsa_reserve_flat_scratch 0
		.amdhsa_float_round_mode_32 0
		.amdhsa_float_round_mode_16_64 0
		.amdhsa_float_denorm_mode_32 3
		.amdhsa_float_denorm_mode_16_64 3
		.amdhsa_dx10_clamp 1
		.amdhsa_ieee_mode 1
		.amdhsa_fp16_overflow 0
		.amdhsa_workgroup_processor_mode 1
		.amdhsa_memory_ordered 1
		.amdhsa_forward_progress 1
		.amdhsa_shared_vgpr_count 0
		.amdhsa_exception_fp_ieee_invalid_op 0
		.amdhsa_exception_fp_denorm_src 0
		.amdhsa_exception_fp_ieee_div_zero 0
		.amdhsa_exception_fp_ieee_overflow 0
		.amdhsa_exception_fp_ieee_underflow 0
		.amdhsa_exception_fp_ieee_inexact 0
		.amdhsa_exception_int_div_zero 0
	.end_amdhsa_kernel
	.section	.text._ZN8rajaperf4apps17intsc_hexrect_hipILm64EEEvPdS2_S2_PiPcS3_S3_lS2_,"axG",@progbits,_ZN8rajaperf4apps17intsc_hexrect_hipILm64EEEvPdS2_S2_PiPcS3_S3_lS2_,comdat
.Lfunc_end0:
	.size	_ZN8rajaperf4apps17intsc_hexrect_hipILm64EEEvPdS2_S2_PiPcS3_S3_lS2_, .Lfunc_end0-_ZN8rajaperf4apps17intsc_hexrect_hipILm64EEEvPdS2_S2_PiPcS3_S3_lS2_
                                        ; -- End function
	.set _ZN8rajaperf4apps17intsc_hexrect_hipILm64EEEvPdS2_S2_PiPcS3_S3_lS2_.num_vgpr, 126
	.set _ZN8rajaperf4apps17intsc_hexrect_hipILm64EEEvPdS2_S2_PiPcS3_S3_lS2_.num_agpr, 0
	.set _ZN8rajaperf4apps17intsc_hexrect_hipILm64EEEvPdS2_S2_PiPcS3_S3_lS2_.numbered_sgpr, 28
	.set _ZN8rajaperf4apps17intsc_hexrect_hipILm64EEEvPdS2_S2_PiPcS3_S3_lS2_.num_named_barrier, 0
	.set _ZN8rajaperf4apps17intsc_hexrect_hipILm64EEEvPdS2_S2_PiPcS3_S3_lS2_.private_seg_size, 416
	.set _ZN8rajaperf4apps17intsc_hexrect_hipILm64EEEvPdS2_S2_PiPcS3_S3_lS2_.uses_vcc, 1
	.set _ZN8rajaperf4apps17intsc_hexrect_hipILm64EEEvPdS2_S2_PiPcS3_S3_lS2_.uses_flat_scratch, 0
	.set _ZN8rajaperf4apps17intsc_hexrect_hipILm64EEEvPdS2_S2_PiPcS3_S3_lS2_.has_dyn_sized_stack, 0
	.set _ZN8rajaperf4apps17intsc_hexrect_hipILm64EEEvPdS2_S2_PiPcS3_S3_lS2_.has_recursion, 0
	.set _ZN8rajaperf4apps17intsc_hexrect_hipILm64EEEvPdS2_S2_PiPcS3_S3_lS2_.has_indirect_call, 0
	.section	.AMDGPU.csdata,"",@progbits
; Kernel info:
; codeLenInByte = 66512
; TotalNumSgprs: 30
; NumVgprs: 126
; ScratchSize: 416
; MemoryBound: 0
; FloatMode: 240
; IeeeMode: 1
; LDSByteSize: 15872 bytes/workgroup (compile time only)
; SGPRBlocks: 0
; VGPRBlocks: 24
; NumSGPRsForWavesPerEU: 30
; NumVGPRsForWavesPerEU: 193
; Occupancy: 4
; WaveLimiterHint : 1
; COMPUTE_PGM_RSRC2:SCRATCH_EN: 1
; COMPUTE_PGM_RSRC2:USER_SGPR: 6
; COMPUTE_PGM_RSRC2:TRAP_HANDLER: 0
; COMPUTE_PGM_RSRC2:TGID_X_EN: 1
; COMPUTE_PGM_RSRC2:TGID_Y_EN: 0
; COMPUTE_PGM_RSRC2:TGID_Z_EN: 0
; COMPUTE_PGM_RSRC2:TIDIG_COMP_CNT: 0
	.section	.text._ZN8rajaperf17lambda_hip_forallILm64EZNS_4apps13INTSC_HEXRECT17runHipVariantImplILm64EEEvNS_9VariantIDEEUllE_EEvllT0_,"axG",@progbits,_ZN8rajaperf17lambda_hip_forallILm64EZNS_4apps13INTSC_HEXRECT17runHipVariantImplILm64EEEvNS_9VariantIDEEUllE_EEvllT0_,comdat
	.protected	_ZN8rajaperf17lambda_hip_forallILm64EZNS_4apps13INTSC_HEXRECT17runHipVariantImplILm64EEEvNS_9VariantIDEEUllE_EEvllT0_ ; -- Begin function _ZN8rajaperf17lambda_hip_forallILm64EZNS_4apps13INTSC_HEXRECT17runHipVariantImplILm64EEEvNS_9VariantIDEEUllE_EEvllT0_
	.globl	_ZN8rajaperf17lambda_hip_forallILm64EZNS_4apps13INTSC_HEXRECT17runHipVariantImplILm64EEEvNS_9VariantIDEEUllE_EEvllT0_
	.p2align	8
	.type	_ZN8rajaperf17lambda_hip_forallILm64EZNS_4apps13INTSC_HEXRECT17runHipVariantImplILm64EEEvNS_9VariantIDEEUllE_EEvllT0_,@function
_ZN8rajaperf17lambda_hip_forallILm64EZNS_4apps13INTSC_HEXRECT17runHipVariantImplILm64EEEvNS_9VariantIDEEUllE_EEvllT0_: ; @_ZN8rajaperf17lambda_hip_forallILm64EZNS_4apps13INTSC_HEXRECT17runHipVariantImplILm64EEEvNS_9VariantIDEEUllE_EEvllT0_
; %bb.0:
	s_load_dwordx4 s[8:11], s[4:5], 0x0
	s_add_u32 s0, s0, s7
	s_mov_b32 s7, 0
	s_addc_u32 s1, s1, 0
	s_lshl_b64 s[6:7], s[6:7], 6
	s_waitcnt lgkmcnt(0)
	s_add_u32 s6, s8, s6
	s_addc_u32 s7, s9, s7
	v_add_co_u32 v30, s6, s6, v0
	v_add_co_ci_u32_e64 v31, null, s7, 0, s6
	s_mov_b32 s6, exec_lo
	v_cmpx_gt_i64_e64 s[10:11], v[30:31]
	s_cbranch_execz .LBB1_345
; %bb.1:
	s_load_dwordx2 s[6:7], s[4:5], 0x10
	s_waitcnt lgkmcnt(0)
	v_cmp_gt_i64_e32 vcc_lo, s[6:7], v[30:31]
	s_and_b32 exec_lo, exec_lo, vcc_lo
	s_cbranch_execz .LBB1_345
; %bb.2:
	s_load_dwordx16 s[16:31], s[4:5], 0x18
	v_lshlrev_b64 v[8:9], 2, v[30:31]
	s_movk_i32 s15, 0xf8
	s_waitcnt lgkmcnt(0)
	v_add_co_u32 v0, vcc_lo, s18, v8
	v_add_co_ci_u32_e64 v1, null, s19, v9, vcc_lo
	s_mov_b64 s[18:19], 0
	global_load_dword v0, v[0:1], off
	s_waitcnt vmcnt(0)
	v_lshlrev_b32_e32 v0, 3, v0
	v_ashrrev_i32_e32 v1, 31, v0
	v_lshlrev_b64 v[0:1], 2, v[0:1]
	v_add_co_u32 v4, vcc_lo, s20, v0
	v_add_co_ci_u32_e64 v5, null, s21, v1, vcc_lo
	v_add_co_u32 v8, vcc_lo, s30, v8
	v_add_co_ci_u32_e64 v9, null, s31, v9, vcc_lo
	s_clause 0x1
	global_load_dwordx4 v[0:3], v[4:5], off
	global_load_dwordx4 v[4:7], v[4:5], off offset:16
	s_movk_i32 s20, 0xe8
	s_or_b32 s21, 0xd0, 8
	global_load_dword v54, v[8:9], off
	s_waitcnt vmcnt(2)
	v_ashrrev_i32_e32 v9, 31, v0
	v_mov_b32_e32 v8, v0
	v_ashrrev_i32_e32 v11, 31, v1
	v_mov_b32_e32 v10, v1
	;; [unrolled: 2-line block ×4, first 2 shown]
	s_waitcnt vmcnt(1)
	v_ashrrev_i32_e32 v3, 31, v4
	v_mov_b32_e32 v2, v4
	v_ashrrev_i32_e32 v15, 31, v5
	v_mov_b32_e32 v14, v5
	;; [unrolled: 2-line block ×4, first 2 shown]
	v_lshlrev_b64 v[6:7], 3, v[8:9]
	v_lshlrev_b64 v[8:9], 3, v[10:11]
	;; [unrolled: 1-line block ×6, first 2 shown]
	v_add_co_u32 v16, vcc_lo, s22, v6
	v_add_co_ci_u32_e64 v17, null, s23, v7, vcc_lo
	v_add_co_u32 v18, vcc_lo, s24, v6
	v_add_co_ci_u32_e64 v19, null, s25, v7, vcc_lo
	;; [unrolled: 2-line block ×8, first 2 shown]
	v_add_co_u32 v0, vcc_lo, s26, v0
	v_lshlrev_b64 v[2:3], 3, v[2:3]
	v_add_co_ci_u32_e64 v1, null, s27, v1, vcc_lo
	v_add_co_u32 v28, vcc_lo, s22, v10
	v_add_co_ci_u32_e64 v29, null, s23, v11, vcc_lo
	v_add_co_u32 v32, vcc_lo, s24, v10
	;; [unrolled: 2-line block ×6, first 2 shown]
	v_lshlrev_b64 v[4:5], 3, v[4:5]
	v_add_co_ci_u32_e64 v3, null, s27, v3, vcc_lo
	v_add_co_u32 v38, vcc_lo, s22, v12
	v_add_co_ci_u32_e64 v39, null, s23, v13, vcc_lo
	v_add_co_u32 v40, vcc_lo, s24, v12
	v_add_co_ci_u32_e64 v41, null, s25, v13, vcc_lo
	v_add_co_u32 v12, vcc_lo, s26, v12
	v_add_co_ci_u32_e64 v13, null, s27, v13, vcc_lo
	v_add_co_u32 v42, vcc_lo, s22, v4
	v_add_co_ci_u32_e64 v43, null, s23, v5, vcc_lo
	v_add_co_u32 v44, vcc_lo, s24, v4
	v_add_co_ci_u32_e64 v45, null, s25, v5, vcc_lo
	v_add_co_u32 v4, vcc_lo, s26, v4
	v_add_co_ci_u32_e64 v5, null, s27, v5, vcc_lo
	v_add_co_u32 v46, vcc_lo, s22, v14
	v_add_co_ci_u32_e64 v47, null, s23, v15, vcc_lo
	v_add_co_u32 v48, vcc_lo, s24, v14
	v_add_co_ci_u32_e64 v49, null, s25, v15, vcc_lo
	v_add_co_u32 v14, vcc_lo, s26, v14
	v_add_co_ci_u32_e64 v15, null, s27, v15, vcc_lo
	global_load_dwordx2 v[16:17], v[16:17], off
	global_load_dwordx2 v[18:19], v[18:19], off
	;; [unrolled: 1-line block ×24, first 2 shown]
	s_clause 0x1
	s_load_dwordx2 s[8:9], s[28:29], 0x4
	s_load_dwordx4 s[4:7], s[28:29], 0x10
	s_waitcnt vmcnt(24)
	v_sub_nc_u32_e32 v52, 0, v54
	s_movk_i32 s22, 0x100
	s_movk_i32 s23, 0xe0
	;; [unrolled: 1-line block ×4, first 2 shown]
	v_max_i32_e32 v55, v54, v52
	s_mov_b32 s26, 0
	s_waitcnt lgkmcnt(0)
	s_abs_i32 s10, s9
	v_cvt_f32_u32_e32 v50, s10
	s_sub_i32 s11, 0, s10
	v_rcp_iflag_f32_e32 v50, v50
	v_mul_f32_e32 v50, 0x4f7ffffe, v50
	v_cvt_u32_f32_e32 v50, v50
	v_mul_lo_u32 v51, s11, v50
	s_abs_i32 s11, s8
	v_cvt_f32_u32_e32 v52, s11
	v_mul_hi_u32 v51, v50, v51
	v_rcp_iflag_f32_e32 v52, v52
	v_add_nc_u32_e32 v50, v50, v51
	v_mul_f32_e32 v52, 0x4f7ffffe, v52
	v_mul_hi_u32 v50, v55, v50
	v_cvt_u32_f32_e32 v52, v52
	v_mul_lo_u32 v51, v50, s10
	v_add_nc_u32_e32 v53, 1, v50
	v_sub_nc_u32_e32 v51, v55, v51
	v_subrev_nc_u32_e32 v56, s10, v51
	v_cmp_le_u32_e32 vcc_lo, s10, v51
	v_cndmask_b32_e32 v50, v50, v53, vcc_lo
	v_cndmask_b32_e32 v51, v51, v56, vcc_lo
	v_xor_b32_e32 v53, s9, v54
	v_add_nc_u32_e32 v56, 1, v50
	v_cmp_le_u32_e32 vcc_lo, s10, v51
	v_ashrrev_i32_e32 v53, 31, v53
	s_sub_i32 s10, 0, s11
	v_mul_lo_u32 v51, s10, v52
	v_cndmask_b32_e32 v50, v50, v56, vcc_lo
	v_xor_b32_e32 v50, v50, v53
	v_mul_hi_u32 v51, v52, v51
	v_sub_nc_u32_e32 v50, v50, v53
	v_sub_nc_u32_e32 v53, 0, v50
	v_add_nc_u32_e32 v51, v52, v51
	v_max_i32_e32 v52, v50, v53
	v_ashrrev_i32_e32 v53, 31, v50
	v_mul_lo_u32 v50, v50, s9
	v_mul_hi_u32 v51, v52, v51
	v_sub_nc_u32_e32 v50, v54, v50
	v_mul_lo_u32 v51, v51, s11
	v_sub_nc_u32_e32 v51, v52, v51
	v_subrev_nc_u32_e32 v52, s11, v51
	v_cmp_le_u32_e32 vcc_lo, s11, v51
	v_cndmask_b32_e32 v51, v51, v52, vcc_lo
	v_subrev_nc_u32_e32 v52, s11, v51
	v_cmp_le_u32_e32 vcc_lo, s11, v51
	s_load_dwordx2 s[10:11], s[28:29], 0x20
	s_waitcnt vmcnt(23)
	buffer_store_dword v17, off, s[0:3], 0 offset:212
	buffer_store_dword v16, off, s[0:3], 0 offset:208
	s_waitcnt vmcnt(22)
	buffer_store_dword v19, off, s[0:3], 0 offset:276
	buffer_store_dword v18, off, s[0:3], 0 offset:272
	;; [unrolled: 3-line block ×24, first 2 shown]
	v_cndmask_b32_e32 v51, v51, v52, vcc_lo
	v_mov_b32_e32 v38, 0
	v_xor_b32_e32 v51, v51, v53
	v_sub_nc_u32_e32 v52, v51, v53
	v_ashrrev_i32_e32 v51, 31, v50
	v_ashrrev_i32_e32 v53, 31, v52
	v_lshlrev_b64 v[50:51], 3, v[50:51]
	v_lshlrev_b64 v[52:53], 3, v[52:53]
	s_waitcnt lgkmcnt(0)
	v_add_co_u32 v50, vcc_lo, s10, v50
	v_add_co_ci_u32_e64 v51, null, s11, v51, vcc_lo
	v_add_co_u32 v52, vcc_lo, s6, v52
	v_add_co_ci_u32_e64 v53, null, s7, v53, vcc_lo
	flat_load_dwordx4 v[0:3], v[50:51]
	flat_load_dwordx4 v[4:7], v[52:53]
	s_mul_i32 s6, s9, s8
	s_abs_i32 s7, s6
	v_cvt_f32_u32_e32 v8, s7
	s_sub_i32 s8, 0, s7
	v_rcp_iflag_f32_e32 v8, v8
	v_mul_f32_e32 v8, 0x4f7ffffe, v8
	v_cvt_u32_f32_e32 v8, v8
	v_mul_lo_u32 v9, s8, v8
	v_mul_hi_u32 v9, v8, v9
	v_add_nc_u32_e32 v8, v8, v9
	v_mul_hi_u32 v8, v55, v8
	v_mul_lo_u32 v9, v8, s7
	v_add_nc_u32_e32 v10, 1, v8
	v_sub_nc_u32_e32 v9, v55, v9
	v_subrev_nc_u32_e32 v11, s7, v9
	v_cmp_le_u32_e32 vcc_lo, s7, v9
	v_cndmask_b32_e32 v8, v8, v10, vcc_lo
	v_cndmask_b32_e32 v9, v9, v11, vcc_lo
	v_xor_b32_e32 v10, s6, v54
	v_add_nc_u32_e32 v11, 1, v8
	v_cmp_le_u32_e32 vcc_lo, s7, v9
	v_ashrrev_i32_e32 v10, 31, v10
	v_cndmask_b32_e32 v8, v8, v11, vcc_lo
	v_xor_b32_e32 v8, v8, v10
	v_sub_nc_u32_e32 v8, v8, v10
	v_ashrrev_i32_e32 v9, 31, v8
	v_lshlrev_b64 v[8:9], 3, v[8:9]
	v_add_co_u32 v8, vcc_lo, s4, v8
	v_add_co_ci_u32_e64 v9, null, s5, v9, vcc_lo
	s_mov_b32 s4, 0x174d6123
	s_mov_b32 s5, 0x2f52f8ac
	flat_load_dwordx4 v[8:11], v[8:9]
	s_waitcnt vmcnt(2) lgkmcnt(2)
	v_add_f64 v[12:13], v[2:3], -v[0:1]
	s_waitcnt vmcnt(1) lgkmcnt(1)
	v_add_f64 v[14:15], v[6:7], -v[4:5]
	v_mul_f64 v[2:3], v[12:13], v[14:15]
	v_fma_f64 v[6:7], v[2:3], v[2:3], s[4:5]
	v_div_scale_f64 v[16:17], null, v[6:7], v[6:7], v[2:3]
	v_div_scale_f64 v[22:23], vcc_lo, v[2:3], v[6:7], v[2:3]
	v_rcp_f64_e32 v[18:19], v[16:17]
	v_fma_f64 v[20:21], -v[16:17], v[18:19], 1.0
	v_fma_f64 v[18:19], v[18:19], v[20:21], v[18:19]
	v_fma_f64 v[20:21], -v[16:17], v[18:19], 1.0
	v_fma_f64 v[18:19], v[18:19], v[20:21], v[18:19]
	v_mul_f64 v[20:21], v[22:23], v[18:19]
	v_fma_f64 v[16:17], -v[16:17], v[20:21], v[22:23]
	v_div_fmas_f64 v[16:17], v[16:17], v[18:19], v[20:21]
	s_waitcnt vmcnt(0) lgkmcnt(0)
	v_cmp_gt_f64_e32 vcc_lo, v[10:11], v[8:9]
	v_div_fixup_f64 v[6:7], v[16:17], v[6:7], v[2:3]
	v_add_f64 v[16:17], v[10:11], -v[8:9]
	v_mov_b32_e32 v10, 0
	buffer_store_dword v10, off, s[0:3], 0 offset:8
	buffer_store_dword v10, off, s[0:3], 0 offset:4
	buffer_store_dword v10, off, s[0:3], 0
	v_mul_f64 v[32:33], v[14:15], v[6:7]
	v_mul_f64 v[6:7], v[12:13], v[6:7]
	v_cndmask_b32_e32 v35, 0, v17, vcc_lo
	v_cndmask_b32_e32 v34, 0, v16, vcc_lo
	s_branch .LBB1_6
.LBB1_3:                                ;   in Loop: Header=BB1_6 Depth=1
	s_or_b32 exec_lo, exec_lo, s10
.LBB1_4:                                ;   in Loop: Header=BB1_6 Depth=1
	s_or_b32 exec_lo, exec_lo, s9
	buffer_load_dword v11, v10, s[0:3], 0 offen
	s_waitcnt vmcnt(0)
	v_lshl_or_b32 v11, 8, s26, v11
	buffer_store_dword v11, v10, s[0:3], 0 offen
.LBB1_5:                                ;   in Loop: Header=BB1_6 Depth=1
	s_or_b32 exec_lo, exec_lo, s27
	s_add_i32 s26, s26, 4
	s_add_u32 s18, s18, 1
	s_addc_u32 s19, s19, 0
	s_cmp_lg_u64 s[18:19], 6
	s_cbranch_scc0 .LBB1_124
.LBB1_6:                                ; =>This Inner Loop Header: Depth=1
	s_cmp_lt_i32 s18, 2
	s_cbranch_scc1 .LBB1_13
; %bb.7:                                ;   in Loop: Header=BB1_6 Depth=1
	s_cmp_gt_i32 s18, 2
	s_cbranch_scc0 .LBB1_14
; %bb.8:                                ;   in Loop: Header=BB1_6 Depth=1
	s_mov_b32 s5, -1
	s_mov_b32 s8, 0
	s_cmp_gt_i32 s18, 3
	s_mov_b32 s4, 0
	s_cbranch_scc0 .LBB1_11
; %bb.9:                                ;   in Loop: Header=BB1_6 Depth=1
	s_cmp_eq_u32 s18, 4
	s_mov_b32 s4, -1
	s_cbranch_scc0 .LBB1_16
; %bb.10:                               ;   in Loop: Header=BB1_6 Depth=1
	s_mov_b32 s4, 0
	s_mov_b32 s5, 0
.LBB1_11:                               ;   in Loop: Header=BB1_6 Depth=1
	s_and_b32 vcc_lo, exec_lo, s5
	s_cbranch_vccz .LBB1_17
; %bb.12:                               ;   in Loop: Header=BB1_6 Depth=1
	s_mov_b32 s8, 2
	s_mov_b32 s9, 3
	;; [unrolled: 1-line block ×8, first 2 shown]
	s_branch .LBB1_18
.LBB1_13:                               ;   in Loop: Header=BB1_6 Depth=1
	s_mov_b32 s4, 0
                                        ; implicit-def: $sgpr6
                                        ; implicit-def: $sgpr5
                                        ; implicit-def: $sgpr7
                                        ; implicit-def: $sgpr11
                                        ; implicit-def: $sgpr9
                                        ; implicit-def: $sgpr12
                                        ; implicit-def: $sgpr8
                                        ; implicit-def: $sgpr10
	s_cbranch_execnz .LBB1_19
	s_branch .LBB1_23
.LBB1_14:                               ;   in Loop: Header=BB1_6 Depth=1
	s_mov_b32 s4, 0
                                        ; implicit-def: $sgpr6
                                        ; implicit-def: $sgpr5
                                        ; implicit-def: $sgpr7
                                        ; implicit-def: $sgpr11
                                        ; implicit-def: $sgpr9
                                        ; implicit-def: $sgpr12
                                        ; implicit-def: $sgpr8
                                        ; implicit-def: $sgpr10
	s_cbranch_execz .LBB1_18
; %bb.15:                               ;   in Loop: Header=BB1_6 Depth=1
	s_movk_i32 s10, 0xd0
	s_mov_b32 s8, 0
	s_mov_b32 s9, 4
	;; [unrolled: 1-line block ×7, first 2 shown]
	s_branch .LBB1_23
.LBB1_16:                               ;   in Loop: Header=BB1_6 Depth=1
.LBB1_17:                               ;   in Loop: Header=BB1_6 Depth=1
	s_movk_i32 s10, 0xd0
	s_mov_b32 s9, 1
	s_mov_b32 s7, 3
	;; [unrolled: 1-line block ×6, first 2 shown]
.LBB1_18:                               ;   in Loop: Header=BB1_6 Depth=1
	s_branch .LBB1_23
.LBB1_19:                               ;   in Loop: Header=BB1_6 Depth=1
	s_cmp_gt_i32 s18, 0
	s_mov_b32 s5, -1
	s_cbranch_scc0 .LBB1_21
; %bb.20:                               ;   in Loop: Header=BB1_6 Depth=1
	s_mov_b32 s5, 0
.LBB1_21:                               ;   in Loop: Header=BB1_6 Depth=1
	s_andn2_b32 vcc_lo, exec_lo, s5
	s_mov_b32 s8, 1
	s_cbranch_vccnz .LBB1_44
; %bb.22:                               ;   in Loop: Header=BB1_6 Depth=1
	s_cmp_lg_u32 s18, 0
	s_movk_i32 s10, 0xd0
	s_mov_b32 s9, 2
	s_mov_b32 s7, 6
	;; [unrolled: 1-line block ×3, first 2 shown]
	s_cselect_b32 s4, -1, 0
	s_mov_b32 s5, s24
	s_mov_b32 s11, s22
	;; [unrolled: 1-line block ×4, first 2 shown]
.LBB1_23:                               ;   in Loop: Header=BB1_6 Depth=1
	s_and_b32 vcc_lo, exec_lo, s4
	s_cbranch_vccz .LBB1_25
.LBB1_24:                               ;   in Loop: Header=BB1_6 Depth=1
	s_mov_b32 s6, 5
	s_mov_b32 s7, 7
	;; [unrolled: 1-line block ×8, first 2 shown]
.LBB1_25:                               ;   in Loop: Header=BB1_6 Depth=1
	v_mov_b32_e32 v11, s10
	v_mov_b32_e32 v17, s12
	;; [unrolled: 1-line block ×4, first 2 shown]
	s_clause 0x7
	buffer_load_dword v10, v11, s[0:3], 0 offen
	buffer_load_dword v11, v11, s[0:3], 0 offen offset:4
	buffer_load_dword v16, v17, s[0:3], 0 offen
	buffer_load_dword v17, v17, s[0:3], 0 offen offset:4
	;; [unrolled: 2-line block ×4, first 2 shown]
	s_waitcnt vmcnt(4)
	v_add_f64 v[22:23], v[10:11], v[16:17]
	v_add_f64 v[10:11], v[10:11], -v[0:1]
	s_waitcnt vmcnt(2)
	v_add_f64 v[18:19], v[22:23], v[18:19]
	v_add_f64 v[22:23], v[16:17], -v[0:1]
	s_waitcnt vmcnt(0)
	v_add_f64 v[18:19], v[18:19], v[20:21]
	v_fma_f64 v[20:21], 0x3fd00000, v[18:19], -v[0:1]
	v_mul_f64 v[18:19], v[32:33], v[10:11]
	v_mul_f64 v[10:11], v[32:33], v[22:23]
	;; [unrolled: 1-line block ×3, first 2 shown]
	v_cmp_ngt_f64_e32 vcc_lo, 0, v[18:19]
	v_cmp_ngt_f64_e64 s5, 0, v[10:11]
	v_cmp_ngt_f64_e64 s4, 0, v[16:17]
	s_or_b32 s4, vcc_lo, s4
	s_or_b32 s4, s4, s5
	s_and_saveexec_b32 s27, s4
	s_cbranch_execz .LBB1_35
; %bb.26:                               ;   in Loop: Header=BB1_6 Depth=1
	v_cmp_nle_f64_e32 vcc_lo, 1.0, v[18:19]
	v_cmp_nle_f64_e64 s4, 1.0, v[16:17]
	v_cmp_nle_f64_e64 s5, 1.0, v[10:11]
	s_or_b32 s4, vcc_lo, s4
	s_or_b32 s4, s4, s5
	s_and_b32 exec_lo, exec_lo, s4
	s_cbranch_execz .LBB1_35
; %bb.27:                               ;   in Loop: Header=BB1_6 Depth=1
	s_lshl_b32 s4, s8, 3
	s_lshl_b32 s5, s9, 3
	s_add_i32 s9, s4, 0xd0
	s_add_i32 s8, s5, 0xd0
	v_mov_b32_e32 v21, s9
	v_mov_b32_e32 v23, s8
	s_lshl_b32 s4, s7, 3
	s_clause 0x3
	buffer_load_dword v20, v21, s[0:3], 0 offen offset:64
	buffer_load_dword v21, v21, s[0:3], 0 offen offset:68
	;; [unrolled: 1-line block ×4, first 2 shown]
	s_add_i32 s7, s4, 0xd0
	s_lshl_b32 s4, s6, 3
	v_mov_b32_e32 v25, s7
	s_clause 0x1
	buffer_load_dword v24, v25, s[0:3], 0 offen offset:64
	buffer_load_dword v25, v25, s[0:3], 0 offen offset:68
	s_add_i32 s6, s4, 0xd0
	v_mov_b32_e32 v27, s6
	s_clause 0x1
	buffer_load_dword v26, v27, s[0:3], 0 offen offset:64
	buffer_load_dword v27, v27, s[0:3], 0 offen offset:68
	s_waitcnt vmcnt(4)
	v_add_f64 v[28:29], v[20:21], v[22:23]
	v_add_f64 v[20:21], v[20:21], -v[4:5]
	s_waitcnt vmcnt(2)
	v_add_f64 v[24:25], v[28:29], v[24:25]
	v_add_f64 v[28:29], v[22:23], -v[4:5]
	s_waitcnt vmcnt(0)
	v_add_f64 v[24:25], v[24:25], v[26:27]
	v_fma_f64 v[26:27], 0x3fd00000, v[24:25], -v[4:5]
	v_mul_f64 v[24:25], v[6:7], v[20:21]
	v_mul_f64 v[20:21], v[6:7], v[28:29]
	;; [unrolled: 1-line block ×3, first 2 shown]
	v_cmp_ngt_f64_e32 vcc_lo, 0, v[24:25]
	v_cmp_ngt_f64_e64 s5, 0, v[20:21]
	v_cmp_ngt_f64_e64 s4, 0, v[22:23]
	s_or_b32 s4, vcc_lo, s4
	s_or_b32 s4, s4, s5
	s_and_b32 exec_lo, exec_lo, s4
	s_cbranch_execz .LBB1_35
; %bb.28:                               ;   in Loop: Header=BB1_6 Depth=1
	v_cmp_nle_f64_e32 vcc_lo, 1.0, v[24:25]
	v_cmp_nle_f64_e64 s4, 1.0, v[22:23]
	v_cmp_nle_f64_e64 s5, 1.0, v[20:21]
	s_or_b32 s4, vcc_lo, s4
	s_or_b32 s4, s4, s5
	s_and_b32 exec_lo, exec_lo, s4
	s_cbranch_execz .LBB1_35
; %bb.29:                               ;   in Loop: Header=BB1_6 Depth=1
	v_mov_b32_e32 v27, s9
	v_mov_b32_e32 v28, s8
	;; [unrolled: 1-line block ×4, first 2 shown]
	s_clause 0x7
	buffer_load_dword v26, v27, s[0:3], 0 offen offset:128
	buffer_load_dword v27, v27, s[0:3], 0 offen offset:132
	buffer_load_dword v39, v28, s[0:3], 0 offen offset:128
	buffer_load_dword v40, v28, s[0:3], 0 offen offset:132
	buffer_load_dword v28, v29, s[0:3], 0 offen offset:128
	buffer_load_dword v29, v29, s[0:3], 0 offen offset:132
	buffer_load_dword v36, v37, s[0:3], 0 offen offset:128
	buffer_load_dword v37, v37, s[0:3], 0 offen offset:132
	s_waitcnt vmcnt(4)
	v_add_f64 v[41:42], v[26:27], v[39:40]
	s_waitcnt vmcnt(2)
	v_add_f64 v[28:29], v[41:42], v[28:29]
	;; [unrolled: 2-line block ×3, first 2 shown]
	v_add_f64 v[36:37], v[26:27], -v[8:9]
	v_add_f64 v[26:27], v[39:40], -v[8:9]
	v_fma_f64 v[28:29], 0x3fd00000, v[28:29], -v[8:9]
	v_cmp_ngt_f64_e32 vcc_lo, 0, v[36:37]
	v_cmp_ngt_f64_e64 s5, 0, v[26:27]
	v_cmp_ngt_f64_e64 s4, 0, v[28:29]
	s_or_b32 s4, vcc_lo, s4
	s_or_b32 s4, s4, s5
	s_and_b32 exec_lo, exec_lo, s4
	s_cbranch_execz .LBB1_35
; %bb.30:                               ;   in Loop: Header=BB1_6 Depth=1
	v_cmp_le_f64_e32 vcc_lo, 0, v[18:19]
	v_cmp_le_f64_e64 s4, 0, v[16:17]
	v_cmp_le_f64_e64 s5, 0, v[10:11]
	v_cmp_gt_f64_e64 s6, 1.0, v[18:19]
	v_cmp_gt_f64_e64 s7, 1.0, v[16:17]
	;; [unrolled: 1-line block ×3, first 2 shown]
	v_cmp_le_f64_e64 s9, 0, v[24:25]
	v_cmp_le_f64_e64 s10, 0, v[22:23]
	;; [unrolled: 1-line block ×3, first 2 shown]
	v_cmp_gt_f64_e64 s12, 1.0, v[24:25]
	v_cmp_gt_f64_e64 s13, 1.0, v[22:23]
	;; [unrolled: 1-line block ×3, first 2 shown]
	v_mov_b32_e32 v10, 8
	s_and_b32 s4, vcc_lo, s4
	s_and_b32 s4, s4, s5
	s_and_b32 s4, s6, s4
	;; [unrolled: 1-line block ×10, first 2 shown]
	s_and_saveexec_b32 s9, s4
	s_cbranch_execz .LBB1_34
; %bb.31:                               ;   in Loop: Header=BB1_6 Depth=1
	v_cmp_nge_f64_e32 vcc_lo, v[36:37], v[34:35]
	v_cmp_nge_f64_e64 s4, v[28:29], v[34:35]
	v_cmp_nge_f64_e64 s5, v[26:27], v[34:35]
	v_mov_b32_e32 v10, 4
	s_or_b32 s4, vcc_lo, s4
	s_or_b32 s4, s4, s5
	s_and_saveexec_b32 s10, s4
	s_cbranch_execz .LBB1_33
; %bb.32:                               ;   in Loop: Header=BB1_6 Depth=1
	v_cmp_le_f64_e32 vcc_lo, 0, v[36:37]
	v_cmp_le_f64_e64 s4, 0, v[28:29]
	v_cmp_le_f64_e64 s5, 0, v[26:27]
	v_cmp_lt_f64_e64 s6, v[36:37], v[34:35]
	v_cmp_lt_f64_e64 s7, v[28:29], v[34:35]
	;; [unrolled: 1-line block ×3, first 2 shown]
	s_and_b32 s4, vcc_lo, s4
	s_and_b32 s4, s4, s5
	s_and_b32 s4, s6, s4
	;; [unrolled: 1-line block ×3, first 2 shown]
	s_and_b32 vcc_lo, s4, s8
	v_cndmask_b32_e32 v10, 8, v38, vcc_lo
.LBB1_33:                               ;   in Loop: Header=BB1_6 Depth=1
	s_or_b32 exec_lo, exec_lo, s10
.LBB1_34:                               ;   in Loop: Header=BB1_6 Depth=1
	s_or_b32 exec_lo, exec_lo, s9
	buffer_load_dword v11, v10, s[0:3], 0 offen
	s_waitcnt vmcnt(0)
	v_lshl_or_b32 v11, 1, s26, v11
	buffer_store_dword v11, v10, s[0:3], 0 offen
.LBB1_35:                               ;   in Loop: Header=BB1_6 Depth=1
	s_or_b32 exec_lo, exec_lo, s27
	s_cmp_lt_i32 s18, 2
	s_cbranch_scc1 .LBB1_43
; %bb.36:                               ;   in Loop: Header=BB1_6 Depth=1
	s_cmp_gt_i32 s18, 2
	s_cbranch_scc0 .LBB1_45
; %bb.37:                               ;   in Loop: Header=BB1_6 Depth=1
	s_mov_b32 s5, -1
	s_mov_b32 s8, 0
	s_cmp_gt_i32 s18, 3
	s_mov_b32 s4, 0
	s_cbranch_scc0 .LBB1_41
; %bb.38:                               ;   in Loop: Header=BB1_6 Depth=1
	s_cmp_eq_u32 s18, 4
	s_mov_b32 s4, -1
	s_cbranch_scc0 .LBB1_40
; %bb.39:                               ;   in Loop: Header=BB1_6 Depth=1
	s_mov_b32 s4, 0
.LBB1_40:                               ;   in Loop: Header=BB1_6 Depth=1
	s_mov_b32 s5, 0
.LBB1_41:                               ;   in Loop: Header=BB1_6 Depth=1
	s_and_b32 vcc_lo, exec_lo, s5
	s_cbranch_vccz .LBB1_47
; %bb.42:                               ;   in Loop: Header=BB1_6 Depth=1
	s_mov_b32 s8, 2
	s_mov_b32 s9, 3
	;; [unrolled: 1-line block ×8, first 2 shown]
	s_branch .LBB1_48
.LBB1_43:                               ;   in Loop: Header=BB1_6 Depth=1
	s_mov_b32 s4, 0
                                        ; implicit-def: $sgpr6
                                        ; implicit-def: $sgpr5
                                        ; implicit-def: $sgpr7
                                        ; implicit-def: $sgpr11
                                        ; implicit-def: $sgpr9
                                        ; implicit-def: $sgpr12
                                        ; implicit-def: $sgpr8
                                        ; implicit-def: $sgpr10
	s_cbranch_execnz .LBB1_49
	s_branch .LBB1_53
.LBB1_44:                               ;   in Loop: Header=BB1_6 Depth=1
	s_mov_b32 s9, 5
	s_mov_b32 s7, 7
	;; [unrolled: 1-line block ×7, first 2 shown]
	s_and_b32 vcc_lo, exec_lo, s4
	s_cbranch_vccnz .LBB1_24
	s_branch .LBB1_25
.LBB1_45:                               ;   in Loop: Header=BB1_6 Depth=1
	s_mov_b32 s4, 0
                                        ; implicit-def: $sgpr6
                                        ; implicit-def: $sgpr5
                                        ; implicit-def: $sgpr7
                                        ; implicit-def: $sgpr11
                                        ; implicit-def: $sgpr9
                                        ; implicit-def: $sgpr12
                                        ; implicit-def: $sgpr8
                                        ; implicit-def: $sgpr10
	s_cbranch_execz .LBB1_48
; %bb.46:                               ;   in Loop: Header=BB1_6 Depth=1
	s_movk_i32 s10, 0xd0
	s_mov_b32 s8, 0
	s_mov_b32 s9, 4
	;; [unrolled: 1-line block ×7, first 2 shown]
	s_branch .LBB1_53
.LBB1_47:                               ;   in Loop: Header=BB1_6 Depth=1
	s_movk_i32 s10, 0xd0
	s_mov_b32 s9, 1
	s_mov_b32 s7, 3
	;; [unrolled: 1-line block ×6, first 2 shown]
.LBB1_48:                               ;   in Loop: Header=BB1_6 Depth=1
	s_branch .LBB1_53
.LBB1_49:                               ;   in Loop: Header=BB1_6 Depth=1
	s_cmp_gt_i32 s18, 0
	s_mov_b32 s5, -1
	s_cbranch_scc0 .LBB1_51
; %bb.50:                               ;   in Loop: Header=BB1_6 Depth=1
	s_mov_b32 s5, 0
.LBB1_51:                               ;   in Loop: Header=BB1_6 Depth=1
	s_andn2_b32 vcc_lo, exec_lo, s5
	s_mov_b32 s8, 1
	s_cbranch_vccnz .LBB1_74
; %bb.52:                               ;   in Loop: Header=BB1_6 Depth=1
	s_cmp_lg_u32 s18, 0
	s_movk_i32 s10, 0xd0
	s_mov_b32 s9, 2
	s_mov_b32 s7, 6
	;; [unrolled: 1-line block ×3, first 2 shown]
	s_cselect_b32 s4, -1, 0
	s_mov_b32 s5, s24
	s_mov_b32 s11, s22
	;; [unrolled: 1-line block ×4, first 2 shown]
.LBB1_53:                               ;   in Loop: Header=BB1_6 Depth=1
	s_and_b32 vcc_lo, exec_lo, s4
	s_cbranch_vccz .LBB1_55
.LBB1_54:                               ;   in Loop: Header=BB1_6 Depth=1
	s_mov_b32 s6, 5
	s_mov_b32 s7, 7
	;; [unrolled: 1-line block ×8, first 2 shown]
.LBB1_55:                               ;   in Loop: Header=BB1_6 Depth=1
	v_mov_b32_e32 v11, s10
	v_mov_b32_e32 v17, s12
	;; [unrolled: 1-line block ×4, first 2 shown]
	s_clause 0x7
	buffer_load_dword v10, v11, s[0:3], 0 offen
	buffer_load_dword v11, v11, s[0:3], 0 offen offset:4
	buffer_load_dword v16, v17, s[0:3], 0 offen
	buffer_load_dword v17, v17, s[0:3], 0 offen offset:4
	;; [unrolled: 2-line block ×4, first 2 shown]
	s_waitcnt vmcnt(4)
	v_add_f64 v[10:11], v[10:11], v[16:17]
	v_add_f64 v[16:17], v[16:17], -v[0:1]
	s_waitcnt vmcnt(2)
	v_add_f64 v[10:11], v[10:11], v[18:19]
	s_waitcnt vmcnt(0)
	v_add_f64 v[10:11], v[10:11], v[20:21]
	v_add_f64 v[20:21], v[18:19], -v[0:1]
	v_mul_f64 v[18:19], v[32:33], v[16:17]
	v_fma_f64 v[10:11], 0x3fd00000, v[10:11], -v[0:1]
	v_cmp_ngt_f64_e32 vcc_lo, 0, v[18:19]
	v_mul_f64 v[16:17], v[32:33], v[10:11]
	v_mul_f64 v[10:11], v[32:33], v[20:21]
	v_cmp_ngt_f64_e64 s4, 0, v[16:17]
	v_cmp_ngt_f64_e64 s5, 0, v[10:11]
	s_or_b32 s4, vcc_lo, s4
	s_or_b32 s4, s4, s5
	s_and_saveexec_b32 s27, s4
	s_cbranch_execz .LBB1_65
; %bb.56:                               ;   in Loop: Header=BB1_6 Depth=1
	v_cmp_nle_f64_e32 vcc_lo, 1.0, v[18:19]
	v_cmp_nle_f64_e64 s4, 1.0, v[16:17]
	v_cmp_nle_f64_e64 s5, 1.0, v[10:11]
	s_or_b32 s4, vcc_lo, s4
	s_or_b32 s4, s4, s5
	s_and_b32 exec_lo, exec_lo, s4
	s_cbranch_execz .LBB1_65
; %bb.57:                               ;   in Loop: Header=BB1_6 Depth=1
	s_lshl_b32 s4, s8, 3
	s_lshl_b32 s5, s9, 3
	s_add_i32 s9, s4, 0xd0
	s_add_i32 s8, s5, 0xd0
	v_mov_b32_e32 v21, s9
	v_mov_b32_e32 v23, s8
	s_lshl_b32 s4, s7, 3
	s_clause 0x3
	buffer_load_dword v20, v21, s[0:3], 0 offen offset:64
	buffer_load_dword v21, v21, s[0:3], 0 offen offset:68
	;; [unrolled: 1-line block ×4, first 2 shown]
	s_add_i32 s7, s4, 0xd0
	s_lshl_b32 s4, s6, 3
	v_mov_b32_e32 v25, s7
	s_clause 0x1
	buffer_load_dword v24, v25, s[0:3], 0 offen offset:64
	buffer_load_dword v25, v25, s[0:3], 0 offen offset:68
	s_add_i32 s6, s4, 0xd0
	v_mov_b32_e32 v27, s6
	s_clause 0x1
	buffer_load_dword v26, v27, s[0:3], 0 offen offset:64
	buffer_load_dword v27, v27, s[0:3], 0 offen offset:68
	s_waitcnt vmcnt(4)
	v_add_f64 v[20:21], v[20:21], v[22:23]
	v_add_f64 v[22:23], v[22:23], -v[4:5]
	s_waitcnt vmcnt(2)
	v_add_f64 v[20:21], v[20:21], v[24:25]
	s_waitcnt vmcnt(0)
	v_add_f64 v[20:21], v[20:21], v[26:27]
	v_add_f64 v[26:27], v[24:25], -v[4:5]
	v_mul_f64 v[24:25], v[6:7], v[22:23]
	v_fma_f64 v[20:21], 0x3fd00000, v[20:21], -v[4:5]
	v_cmp_ngt_f64_e32 vcc_lo, 0, v[24:25]
	v_mul_f64 v[22:23], v[6:7], v[20:21]
	v_mul_f64 v[20:21], v[6:7], v[26:27]
	v_cmp_ngt_f64_e64 s4, 0, v[22:23]
	v_cmp_ngt_f64_e64 s5, 0, v[20:21]
	s_or_b32 s4, vcc_lo, s4
	s_or_b32 s4, s4, s5
	s_and_b32 exec_lo, exec_lo, s4
	s_cbranch_execz .LBB1_65
; %bb.58:                               ;   in Loop: Header=BB1_6 Depth=1
	v_cmp_nle_f64_e32 vcc_lo, 1.0, v[24:25]
	v_cmp_nle_f64_e64 s4, 1.0, v[22:23]
	v_cmp_nle_f64_e64 s5, 1.0, v[20:21]
	s_or_b32 s4, vcc_lo, s4
	s_or_b32 s4, s4, s5
	s_and_b32 exec_lo, exec_lo, s4
	s_cbranch_execz .LBB1_65
; %bb.59:                               ;   in Loop: Header=BB1_6 Depth=1
	v_mov_b32_e32 v27, s9
	v_mov_b32_e32 v29, s8
	;; [unrolled: 1-line block ×4, first 2 shown]
	s_clause 0x7
	buffer_load_dword v26, v27, s[0:3], 0 offen offset:128
	buffer_load_dword v27, v27, s[0:3], 0 offen offset:132
	;; [unrolled: 1-line block ×8, first 2 shown]
	s_waitcnt vmcnt(4)
	v_add_f64 v[26:27], v[26:27], v[28:29]
	s_waitcnt vmcnt(2)
	v_add_f64 v[26:27], v[26:27], v[39:40]
	;; [unrolled: 2-line block ×3, first 2 shown]
	v_add_f64 v[36:37], v[28:29], -v[8:9]
	v_fma_f64 v[28:29], 0x3fd00000, v[26:27], -v[8:9]
	v_add_f64 v[26:27], v[39:40], -v[8:9]
	v_cmp_ngt_f64_e32 vcc_lo, 0, v[36:37]
	v_cmp_ngt_f64_e64 s4, 0, v[28:29]
	v_cmp_ngt_f64_e64 s5, 0, v[26:27]
	s_or_b32 s4, vcc_lo, s4
	s_or_b32 s4, s4, s5
	s_and_b32 exec_lo, exec_lo, s4
	s_cbranch_execz .LBB1_65
; %bb.60:                               ;   in Loop: Header=BB1_6 Depth=1
	v_cmp_le_f64_e32 vcc_lo, 0, v[18:19]
	v_cmp_le_f64_e64 s4, 0, v[16:17]
	v_cmp_le_f64_e64 s5, 0, v[10:11]
	v_cmp_gt_f64_e64 s6, 1.0, v[18:19]
	v_cmp_gt_f64_e64 s7, 1.0, v[16:17]
	;; [unrolled: 1-line block ×3, first 2 shown]
	v_cmp_le_f64_e64 s9, 0, v[24:25]
	v_cmp_le_f64_e64 s10, 0, v[22:23]
	;; [unrolled: 1-line block ×3, first 2 shown]
	v_cmp_gt_f64_e64 s12, 1.0, v[24:25]
	v_cmp_gt_f64_e64 s13, 1.0, v[22:23]
	;; [unrolled: 1-line block ×3, first 2 shown]
	v_mov_b32_e32 v10, 8
	s_and_b32 s4, vcc_lo, s4
	s_and_b32 s4, s4, s5
	s_and_b32 s4, s6, s4
	s_and_b32 s4, s4, s7
	s_and_b32 s4, s4, s8
	s_and_b32 s4, s9, s4
	s_and_b32 s4, s4, s10
	s_and_b32 s4, s4, s11
	s_and_b32 s4, s12, s4
	s_and_b32 s4, s4, s13
	s_and_b32 s4, s4, s14
	s_and_saveexec_b32 s9, s4
	s_cbranch_execz .LBB1_64
; %bb.61:                               ;   in Loop: Header=BB1_6 Depth=1
	v_cmp_nge_f64_e32 vcc_lo, v[36:37], v[34:35]
	v_cmp_nge_f64_e64 s4, v[28:29], v[34:35]
	v_cmp_nge_f64_e64 s5, v[26:27], v[34:35]
	v_mov_b32_e32 v10, 4
	s_or_b32 s4, vcc_lo, s4
	s_or_b32 s4, s4, s5
	s_and_saveexec_b32 s10, s4
	s_cbranch_execz .LBB1_63
; %bb.62:                               ;   in Loop: Header=BB1_6 Depth=1
	v_cmp_le_f64_e32 vcc_lo, 0, v[36:37]
	v_cmp_le_f64_e64 s4, 0, v[28:29]
	v_cmp_le_f64_e64 s5, 0, v[26:27]
	v_cmp_lt_f64_e64 s6, v[36:37], v[34:35]
	v_cmp_lt_f64_e64 s7, v[28:29], v[34:35]
	;; [unrolled: 1-line block ×3, first 2 shown]
	s_and_b32 s4, vcc_lo, s4
	s_and_b32 s4, s4, s5
	s_and_b32 s4, s6, s4
	s_and_b32 s4, s4, s7
	s_and_b32 vcc_lo, s4, s8
	v_cndmask_b32_e32 v10, 8, v38, vcc_lo
.LBB1_63:                               ;   in Loop: Header=BB1_6 Depth=1
	s_or_b32 exec_lo, exec_lo, s10
.LBB1_64:                               ;   in Loop: Header=BB1_6 Depth=1
	s_or_b32 exec_lo, exec_lo, s9
	buffer_load_dword v11, v10, s[0:3], 0 offen
	s_waitcnt vmcnt(0)
	v_lshl_or_b32 v11, 2, s26, v11
	buffer_store_dword v11, v10, s[0:3], 0 offen
.LBB1_65:                               ;   in Loop: Header=BB1_6 Depth=1
	s_or_b32 exec_lo, exec_lo, s27
	s_cmp_lt_i32 s18, 2
	s_cbranch_scc1 .LBB1_73
; %bb.66:                               ;   in Loop: Header=BB1_6 Depth=1
	s_cmp_gt_i32 s18, 2
	s_cbranch_scc0 .LBB1_75
; %bb.67:                               ;   in Loop: Header=BB1_6 Depth=1
	s_mov_b32 s5, -1
	s_mov_b32 s8, 0
	s_cmp_gt_i32 s18, 3
	s_mov_b32 s4, 0
	s_cbranch_scc0 .LBB1_71
; %bb.68:                               ;   in Loop: Header=BB1_6 Depth=1
	s_cmp_eq_u32 s18, 4
	s_mov_b32 s4, -1
	s_cbranch_scc0 .LBB1_70
; %bb.69:                               ;   in Loop: Header=BB1_6 Depth=1
	s_mov_b32 s4, 0
.LBB1_70:                               ;   in Loop: Header=BB1_6 Depth=1
	s_mov_b32 s5, 0
.LBB1_71:                               ;   in Loop: Header=BB1_6 Depth=1
	s_and_b32 vcc_lo, exec_lo, s5
	s_cbranch_vccz .LBB1_77
; %bb.72:                               ;   in Loop: Header=BB1_6 Depth=1
	s_mov_b32 s8, 2
	s_mov_b32 s9, 3
	;; [unrolled: 1-line block ×8, first 2 shown]
	s_branch .LBB1_78
.LBB1_73:                               ;   in Loop: Header=BB1_6 Depth=1
	s_mov_b32 s4, 0
                                        ; implicit-def: $sgpr6
                                        ; implicit-def: $sgpr5
                                        ; implicit-def: $sgpr7
                                        ; implicit-def: $sgpr11
                                        ; implicit-def: $sgpr9
                                        ; implicit-def: $sgpr12
                                        ; implicit-def: $sgpr8
                                        ; implicit-def: $sgpr10
	s_cbranch_execnz .LBB1_79
	s_branch .LBB1_83
.LBB1_74:                               ;   in Loop: Header=BB1_6 Depth=1
	s_mov_b32 s9, 5
	s_mov_b32 s7, 7
	;; [unrolled: 1-line block ×7, first 2 shown]
	s_and_b32 vcc_lo, exec_lo, s4
	s_cbranch_vccnz .LBB1_54
	s_branch .LBB1_55
.LBB1_75:                               ;   in Loop: Header=BB1_6 Depth=1
	s_mov_b32 s4, 0
                                        ; implicit-def: $sgpr6
                                        ; implicit-def: $sgpr5
                                        ; implicit-def: $sgpr7
                                        ; implicit-def: $sgpr11
                                        ; implicit-def: $sgpr9
                                        ; implicit-def: $sgpr12
                                        ; implicit-def: $sgpr8
                                        ; implicit-def: $sgpr10
	s_cbranch_execz .LBB1_78
; %bb.76:                               ;   in Loop: Header=BB1_6 Depth=1
	s_movk_i32 s10, 0xd0
	s_mov_b32 s8, 0
	s_mov_b32 s9, 4
	;; [unrolled: 1-line block ×7, first 2 shown]
	s_branch .LBB1_83
.LBB1_77:                               ;   in Loop: Header=BB1_6 Depth=1
	s_movk_i32 s10, 0xd0
	s_mov_b32 s9, 1
	s_mov_b32 s7, 3
	;; [unrolled: 1-line block ×6, first 2 shown]
.LBB1_78:                               ;   in Loop: Header=BB1_6 Depth=1
	s_branch .LBB1_83
.LBB1_79:                               ;   in Loop: Header=BB1_6 Depth=1
	s_cmp_gt_i32 s18, 0
	s_mov_b32 s5, -1
	s_cbranch_scc0 .LBB1_81
; %bb.80:                               ;   in Loop: Header=BB1_6 Depth=1
	s_mov_b32 s5, 0
.LBB1_81:                               ;   in Loop: Header=BB1_6 Depth=1
	s_andn2_b32 vcc_lo, exec_lo, s5
	s_mov_b32 s8, 1
	s_cbranch_vccnz .LBB1_104
; %bb.82:                               ;   in Loop: Header=BB1_6 Depth=1
	s_cmp_lg_u32 s18, 0
	s_movk_i32 s10, 0xd0
	s_mov_b32 s9, 2
	s_mov_b32 s7, 6
	;; [unrolled: 1-line block ×3, first 2 shown]
	s_cselect_b32 s4, -1, 0
	s_mov_b32 s5, s24
	s_mov_b32 s11, s22
	;; [unrolled: 1-line block ×4, first 2 shown]
.LBB1_83:                               ;   in Loop: Header=BB1_6 Depth=1
	s_and_b32 vcc_lo, exec_lo, s4
	s_cbranch_vccz .LBB1_85
.LBB1_84:                               ;   in Loop: Header=BB1_6 Depth=1
	s_mov_b32 s6, 5
	s_mov_b32 s7, 7
	;; [unrolled: 1-line block ×8, first 2 shown]
.LBB1_85:                               ;   in Loop: Header=BB1_6 Depth=1
	v_mov_b32_e32 v11, s10
	v_mov_b32_e32 v17, s12
	;; [unrolled: 1-line block ×4, first 2 shown]
	s_clause 0x7
	buffer_load_dword v10, v11, s[0:3], 0 offen
	buffer_load_dword v11, v11, s[0:3], 0 offen offset:4
	buffer_load_dword v16, v17, s[0:3], 0 offen
	buffer_load_dword v17, v17, s[0:3], 0 offen offset:4
	;; [unrolled: 2-line block ×4, first 2 shown]
	s_waitcnt vmcnt(4)
	v_add_f64 v[10:11], v[10:11], v[16:17]
	s_waitcnt vmcnt(2)
	v_add_f64 v[16:17], v[18:19], -v[0:1]
	v_add_f64 v[10:11], v[10:11], v[18:19]
	v_mul_f64 v[18:19], v[32:33], v[16:17]
	s_waitcnt vmcnt(0)
	v_add_f64 v[10:11], v[10:11], v[20:21]
	v_add_f64 v[20:21], v[20:21], -v[0:1]
	v_cmp_ngt_f64_e32 vcc_lo, 0, v[18:19]
	v_fma_f64 v[10:11], 0x3fd00000, v[10:11], -v[0:1]
	v_mul_f64 v[16:17], v[32:33], v[10:11]
	v_mul_f64 v[10:11], v[32:33], v[20:21]
	v_cmp_ngt_f64_e64 s4, 0, v[16:17]
	v_cmp_ngt_f64_e64 s5, 0, v[10:11]
	s_or_b32 s4, vcc_lo, s4
	s_or_b32 s4, s4, s5
	s_and_saveexec_b32 s27, s4
	s_cbranch_execz .LBB1_95
; %bb.86:                               ;   in Loop: Header=BB1_6 Depth=1
	v_cmp_nle_f64_e32 vcc_lo, 1.0, v[18:19]
	v_cmp_nle_f64_e64 s4, 1.0, v[16:17]
	v_cmp_nle_f64_e64 s5, 1.0, v[10:11]
	s_or_b32 s4, vcc_lo, s4
	s_or_b32 s4, s4, s5
	s_and_b32 exec_lo, exec_lo, s4
	s_cbranch_execz .LBB1_95
; %bb.87:                               ;   in Loop: Header=BB1_6 Depth=1
	s_lshl_b32 s4, s8, 3
	s_lshl_b32 s5, s9, 3
	s_add_i32 s9, s4, 0xd0
	s_add_i32 s8, s5, 0xd0
	v_mov_b32_e32 v21, s9
	v_mov_b32_e32 v23, s8
	s_lshl_b32 s4, s7, 3
	s_clause 0x3
	buffer_load_dword v20, v21, s[0:3], 0 offen offset:64
	buffer_load_dword v21, v21, s[0:3], 0 offen offset:68
	;; [unrolled: 1-line block ×4, first 2 shown]
	s_add_i32 s7, s4, 0xd0
	s_lshl_b32 s4, s6, 3
	v_mov_b32_e32 v25, s7
	s_clause 0x1
	buffer_load_dword v24, v25, s[0:3], 0 offen offset:64
	buffer_load_dword v25, v25, s[0:3], 0 offen offset:68
	s_add_i32 s6, s4, 0xd0
	v_mov_b32_e32 v27, s6
	s_clause 0x1
	buffer_load_dword v26, v27, s[0:3], 0 offen offset:64
	buffer_load_dword v27, v27, s[0:3], 0 offen offset:68
	s_waitcnt vmcnt(4)
	v_add_f64 v[20:21], v[20:21], v[22:23]
	s_waitcnt vmcnt(2)
	v_add_f64 v[22:23], v[24:25], -v[4:5]
	v_add_f64 v[20:21], v[20:21], v[24:25]
	v_mul_f64 v[24:25], v[6:7], v[22:23]
	s_waitcnt vmcnt(0)
	v_add_f64 v[20:21], v[20:21], v[26:27]
	v_add_f64 v[26:27], v[26:27], -v[4:5]
	v_cmp_ngt_f64_e32 vcc_lo, 0, v[24:25]
	v_fma_f64 v[20:21], 0x3fd00000, v[20:21], -v[4:5]
	v_mul_f64 v[22:23], v[6:7], v[20:21]
	v_mul_f64 v[20:21], v[6:7], v[26:27]
	v_cmp_ngt_f64_e64 s4, 0, v[22:23]
	v_cmp_ngt_f64_e64 s5, 0, v[20:21]
	s_or_b32 s4, vcc_lo, s4
	s_or_b32 s4, s4, s5
	s_and_b32 exec_lo, exec_lo, s4
	s_cbranch_execz .LBB1_95
; %bb.88:                               ;   in Loop: Header=BB1_6 Depth=1
	v_cmp_nle_f64_e32 vcc_lo, 1.0, v[24:25]
	v_cmp_nle_f64_e64 s4, 1.0, v[22:23]
	v_cmp_nle_f64_e64 s5, 1.0, v[20:21]
	s_or_b32 s4, vcc_lo, s4
	s_or_b32 s4, s4, s5
	s_and_b32 exec_lo, exec_lo, s4
	s_cbranch_execz .LBB1_95
; %bb.89:                               ;   in Loop: Header=BB1_6 Depth=1
	v_mov_b32_e32 v27, s9
	v_mov_b32_e32 v29, s8
	;; [unrolled: 1-line block ×4, first 2 shown]
	s_clause 0x7
	buffer_load_dword v26, v27, s[0:3], 0 offen offset:128
	buffer_load_dword v27, v27, s[0:3], 0 offen offset:132
	buffer_load_dword v28, v29, s[0:3], 0 offen offset:128
	buffer_load_dword v29, v29, s[0:3], 0 offen offset:132
	buffer_load_dword v36, v37, s[0:3], 0 offen offset:128
	buffer_load_dword v37, v37, s[0:3], 0 offen offset:132
	buffer_load_dword v39, v40, s[0:3], 0 offen offset:128
	buffer_load_dword v40, v40, s[0:3], 0 offen offset:132
	s_waitcnt vmcnt(4)
	v_add_f64 v[26:27], v[26:27], v[28:29]
	s_waitcnt vmcnt(2)
	v_add_f64 v[26:27], v[26:27], v[36:37]
	v_add_f64 v[36:37], v[36:37], -v[8:9]
	s_waitcnt vmcnt(0)
	v_add_f64 v[26:27], v[26:27], v[39:40]
	v_cmp_ngt_f64_e32 vcc_lo, 0, v[36:37]
	v_fma_f64 v[28:29], 0x3fd00000, v[26:27], -v[8:9]
	v_add_f64 v[26:27], v[39:40], -v[8:9]
	v_cmp_ngt_f64_e64 s4, 0, v[28:29]
	v_cmp_ngt_f64_e64 s5, 0, v[26:27]
	s_or_b32 s4, vcc_lo, s4
	s_or_b32 s4, s4, s5
	s_and_b32 exec_lo, exec_lo, s4
	s_cbranch_execz .LBB1_95
; %bb.90:                               ;   in Loop: Header=BB1_6 Depth=1
	v_cmp_le_f64_e32 vcc_lo, 0, v[18:19]
	v_cmp_le_f64_e64 s4, 0, v[16:17]
	v_cmp_le_f64_e64 s5, 0, v[10:11]
	v_cmp_gt_f64_e64 s6, 1.0, v[18:19]
	v_cmp_gt_f64_e64 s7, 1.0, v[16:17]
	;; [unrolled: 1-line block ×3, first 2 shown]
	v_cmp_le_f64_e64 s9, 0, v[24:25]
	v_cmp_le_f64_e64 s10, 0, v[22:23]
	;; [unrolled: 1-line block ×3, first 2 shown]
	v_cmp_gt_f64_e64 s12, 1.0, v[24:25]
	v_cmp_gt_f64_e64 s13, 1.0, v[22:23]
	;; [unrolled: 1-line block ×3, first 2 shown]
	v_mov_b32_e32 v10, 8
	s_and_b32 s4, vcc_lo, s4
	s_and_b32 s4, s4, s5
	s_and_b32 s4, s6, s4
	s_and_b32 s4, s4, s7
	s_and_b32 s4, s4, s8
	s_and_b32 s4, s9, s4
	s_and_b32 s4, s4, s10
	s_and_b32 s4, s4, s11
	s_and_b32 s4, s12, s4
	s_and_b32 s4, s4, s13
	s_and_b32 s4, s4, s14
	s_and_saveexec_b32 s9, s4
	s_cbranch_execz .LBB1_94
; %bb.91:                               ;   in Loop: Header=BB1_6 Depth=1
	v_cmp_nge_f64_e32 vcc_lo, v[36:37], v[34:35]
	v_cmp_nge_f64_e64 s4, v[28:29], v[34:35]
	v_cmp_nge_f64_e64 s5, v[26:27], v[34:35]
	v_mov_b32_e32 v10, 4
	s_or_b32 s4, vcc_lo, s4
	s_or_b32 s4, s4, s5
	s_and_saveexec_b32 s10, s4
	s_cbranch_execz .LBB1_93
; %bb.92:                               ;   in Loop: Header=BB1_6 Depth=1
	v_cmp_le_f64_e32 vcc_lo, 0, v[36:37]
	v_cmp_le_f64_e64 s4, 0, v[28:29]
	v_cmp_le_f64_e64 s5, 0, v[26:27]
	v_cmp_lt_f64_e64 s6, v[36:37], v[34:35]
	v_cmp_lt_f64_e64 s7, v[28:29], v[34:35]
	;; [unrolled: 1-line block ×3, first 2 shown]
	s_and_b32 s4, vcc_lo, s4
	s_and_b32 s4, s4, s5
	s_and_b32 s4, s6, s4
	;; [unrolled: 1-line block ×3, first 2 shown]
	s_and_b32 vcc_lo, s4, s8
	v_cndmask_b32_e32 v10, 8, v38, vcc_lo
.LBB1_93:                               ;   in Loop: Header=BB1_6 Depth=1
	s_or_b32 exec_lo, exec_lo, s10
.LBB1_94:                               ;   in Loop: Header=BB1_6 Depth=1
	s_or_b32 exec_lo, exec_lo, s9
	buffer_load_dword v11, v10, s[0:3], 0 offen
	s_waitcnt vmcnt(0)
	v_lshl_or_b32 v11, 4, s26, v11
	buffer_store_dword v11, v10, s[0:3], 0 offen
.LBB1_95:                               ;   in Loop: Header=BB1_6 Depth=1
	s_or_b32 exec_lo, exec_lo, s27
	s_cmp_lt_i32 s18, 2
	s_cbranch_scc1 .LBB1_103
; %bb.96:                               ;   in Loop: Header=BB1_6 Depth=1
	s_cmp_gt_i32 s18, 2
	s_cbranch_scc0 .LBB1_105
; %bb.97:                               ;   in Loop: Header=BB1_6 Depth=1
	s_mov_b32 s5, -1
	s_mov_b32 s8, 0
	s_cmp_gt_i32 s18, 3
	s_mov_b32 s4, 0
	s_cbranch_scc0 .LBB1_101
; %bb.98:                               ;   in Loop: Header=BB1_6 Depth=1
	s_cmp_eq_u32 s18, 4
	s_mov_b32 s4, -1
	s_cbranch_scc0 .LBB1_100
; %bb.99:                               ;   in Loop: Header=BB1_6 Depth=1
	s_mov_b32 s4, 0
.LBB1_100:                              ;   in Loop: Header=BB1_6 Depth=1
	s_mov_b32 s5, 0
.LBB1_101:                              ;   in Loop: Header=BB1_6 Depth=1
	s_and_b32 vcc_lo, exec_lo, s5
	s_cbranch_vccz .LBB1_107
; %bb.102:                              ;   in Loop: Header=BB1_6 Depth=1
	s_mov_b32 s8, 2
	s_mov_b32 s9, 3
	;; [unrolled: 1-line block ×8, first 2 shown]
	s_branch .LBB1_108
.LBB1_103:                              ;   in Loop: Header=BB1_6 Depth=1
	s_mov_b32 s4, 0
                                        ; implicit-def: $sgpr6
                                        ; implicit-def: $sgpr5
                                        ; implicit-def: $sgpr7
                                        ; implicit-def: $sgpr11
                                        ; implicit-def: $sgpr9
                                        ; implicit-def: $sgpr12
                                        ; implicit-def: $sgpr8
                                        ; implicit-def: $sgpr10
	s_cbranch_execnz .LBB1_109
	s_branch .LBB1_113
.LBB1_104:                              ;   in Loop: Header=BB1_6 Depth=1
	s_mov_b32 s9, 5
	s_mov_b32 s7, 7
	;; [unrolled: 1-line block ×7, first 2 shown]
	s_and_b32 vcc_lo, exec_lo, s4
	s_cbranch_vccnz .LBB1_84
	s_branch .LBB1_85
.LBB1_105:                              ;   in Loop: Header=BB1_6 Depth=1
	s_mov_b32 s4, 0
                                        ; implicit-def: $sgpr6
                                        ; implicit-def: $sgpr5
                                        ; implicit-def: $sgpr7
                                        ; implicit-def: $sgpr11
                                        ; implicit-def: $sgpr9
                                        ; implicit-def: $sgpr12
                                        ; implicit-def: $sgpr8
                                        ; implicit-def: $sgpr10
	s_cbranch_execz .LBB1_108
; %bb.106:                              ;   in Loop: Header=BB1_6 Depth=1
	s_movk_i32 s10, 0xd0
	s_mov_b32 s8, 0
	s_mov_b32 s9, 4
	;; [unrolled: 1-line block ×7, first 2 shown]
	s_branch .LBB1_113
.LBB1_107:                              ;   in Loop: Header=BB1_6 Depth=1
	s_movk_i32 s10, 0xd0
	s_mov_b32 s9, 1
	s_mov_b32 s7, 3
	;; [unrolled: 1-line block ×6, first 2 shown]
.LBB1_108:                              ;   in Loop: Header=BB1_6 Depth=1
	s_branch .LBB1_113
.LBB1_109:                              ;   in Loop: Header=BB1_6 Depth=1
	s_cmp_gt_i32 s18, 0
	s_mov_b32 s5, -1
	s_cbranch_scc0 .LBB1_111
; %bb.110:                              ;   in Loop: Header=BB1_6 Depth=1
	s_mov_b32 s5, 0
.LBB1_111:                              ;   in Loop: Header=BB1_6 Depth=1
	s_andn2_b32 vcc_lo, exec_lo, s5
	s_mov_b32 s8, 1
	s_cbranch_vccnz .LBB1_123
; %bb.112:                              ;   in Loop: Header=BB1_6 Depth=1
	s_cmp_lg_u32 s18, 0
	s_movk_i32 s10, 0xd0
	s_mov_b32 s9, 2
	s_mov_b32 s7, 6
	;; [unrolled: 1-line block ×3, first 2 shown]
	s_cselect_b32 s4, -1, 0
	s_mov_b32 s5, s24
	s_mov_b32 s11, s22
	;; [unrolled: 1-line block ×4, first 2 shown]
.LBB1_113:                              ;   in Loop: Header=BB1_6 Depth=1
	s_and_b32 vcc_lo, exec_lo, s4
	s_cbranch_vccz .LBB1_115
.LBB1_114:                              ;   in Loop: Header=BB1_6 Depth=1
	s_mov_b32 s6, 5
	s_mov_b32 s7, 7
	;; [unrolled: 1-line block ×8, first 2 shown]
.LBB1_115:                              ;   in Loop: Header=BB1_6 Depth=1
	v_mov_b32_e32 v11, s10
	v_mov_b32_e32 v17, s12
	;; [unrolled: 1-line block ×4, first 2 shown]
	s_clause 0x7
	buffer_load_dword v10, v11, s[0:3], 0 offen
	buffer_load_dword v11, v11, s[0:3], 0 offen offset:4
	buffer_load_dword v16, v17, s[0:3], 0 offen
	buffer_load_dword v17, v17, s[0:3], 0 offen offset:4
	;; [unrolled: 2-line block ×4, first 2 shown]
	s_waitcnt vmcnt(4)
	v_add_f64 v[16:17], v[10:11], v[16:17]
	v_add_f64 v[10:11], v[10:11], -v[0:1]
	s_waitcnt vmcnt(2)
	v_add_f64 v[16:17], v[16:17], v[18:19]
	s_waitcnt vmcnt(0)
	v_add_f64 v[18:19], v[20:21], -v[0:1]
	v_mul_f64 v[10:11], v[32:33], v[10:11]
	v_add_f64 v[16:17], v[16:17], v[20:21]
	v_mul_f64 v[18:19], v[32:33], v[18:19]
	v_cmp_ngt_f64_e64 s5, 0, v[10:11]
	v_fma_f64 v[16:17], 0x3fd00000, v[16:17], -v[0:1]
	v_cmp_ngt_f64_e32 vcc_lo, 0, v[18:19]
	v_mul_f64 v[16:17], v[32:33], v[16:17]
	v_cmp_ngt_f64_e64 s4, 0, v[16:17]
	s_or_b32 s4, vcc_lo, s4
	s_or_b32 s4, s4, s5
	s_and_saveexec_b32 s27, s4
	s_cbranch_execz .LBB1_5
; %bb.116:                              ;   in Loop: Header=BB1_6 Depth=1
	v_cmp_nle_f64_e32 vcc_lo, 1.0, v[18:19]
	v_cmp_nle_f64_e64 s4, 1.0, v[16:17]
	v_cmp_nle_f64_e64 s5, 1.0, v[10:11]
	s_or_b32 s4, vcc_lo, s4
	s_or_b32 s4, s4, s5
	s_and_b32 exec_lo, exec_lo, s4
	s_cbranch_execz .LBB1_5
; %bb.117:                              ;   in Loop: Header=BB1_6 Depth=1
	s_lshl_b32 s4, s8, 3
	s_lshl_b32 s5, s9, 3
	s_add_i32 s9, s4, 0xd0
	s_add_i32 s8, s5, 0xd0
	v_mov_b32_e32 v21, s9
	v_mov_b32_e32 v23, s8
	s_lshl_b32 s4, s7, 3
	s_clause 0x3
	buffer_load_dword v20, v21, s[0:3], 0 offen offset:64
	buffer_load_dword v21, v21, s[0:3], 0 offen offset:68
	;; [unrolled: 1-line block ×4, first 2 shown]
	s_add_i32 s7, s4, 0xd0
	s_lshl_b32 s4, s6, 3
	v_mov_b32_e32 v25, s7
	s_clause 0x1
	buffer_load_dword v24, v25, s[0:3], 0 offen offset:64
	buffer_load_dword v25, v25, s[0:3], 0 offen offset:68
	s_add_i32 s6, s4, 0xd0
	v_mov_b32_e32 v27, s6
	s_clause 0x1
	buffer_load_dword v26, v27, s[0:3], 0 offen offset:64
	buffer_load_dword v27, v27, s[0:3], 0 offen offset:68
	s_waitcnt vmcnt(4)
	v_add_f64 v[22:23], v[20:21], v[22:23]
	v_add_f64 v[20:21], v[20:21], -v[4:5]
	s_waitcnt vmcnt(2)
	v_add_f64 v[22:23], v[22:23], v[24:25]
	s_waitcnt vmcnt(0)
	v_add_f64 v[24:25], v[26:27], -v[4:5]
	v_mul_f64 v[20:21], v[6:7], v[20:21]
	v_add_f64 v[22:23], v[22:23], v[26:27]
	v_mul_f64 v[24:25], v[6:7], v[24:25]
	v_cmp_ngt_f64_e64 s5, 0, v[20:21]
	v_fma_f64 v[22:23], 0x3fd00000, v[22:23], -v[4:5]
	v_cmp_ngt_f64_e32 vcc_lo, 0, v[24:25]
	v_mul_f64 v[22:23], v[6:7], v[22:23]
	v_cmp_ngt_f64_e64 s4, 0, v[22:23]
	s_or_b32 s4, vcc_lo, s4
	s_or_b32 s4, s4, s5
	s_and_b32 exec_lo, exec_lo, s4
	s_cbranch_execz .LBB1_5
; %bb.118:                              ;   in Loop: Header=BB1_6 Depth=1
	v_cmp_nle_f64_e32 vcc_lo, 1.0, v[24:25]
	v_cmp_nle_f64_e64 s4, 1.0, v[22:23]
	v_cmp_nle_f64_e64 s5, 1.0, v[20:21]
	s_or_b32 s4, vcc_lo, s4
	s_or_b32 s4, s4, s5
	s_and_b32 exec_lo, exec_lo, s4
	s_cbranch_execz .LBB1_5
; %bb.119:                              ;   in Loop: Header=BB1_6 Depth=1
	v_mov_b32_e32 v27, s9
	v_mov_b32_e32 v29, s8
	;; [unrolled: 1-line block ×4, first 2 shown]
	s_clause 0x7
	buffer_load_dword v26, v27, s[0:3], 0 offen offset:128
	buffer_load_dword v27, v27, s[0:3], 0 offen offset:132
	;; [unrolled: 1-line block ×8, first 2 shown]
	s_waitcnt vmcnt(4)
	v_add_f64 v[28:29], v[26:27], v[28:29]
	v_add_f64 v[26:27], v[26:27], -v[8:9]
	s_waitcnt vmcnt(2)
	v_add_f64 v[28:29], v[28:29], v[36:37]
	s_waitcnt vmcnt(0)
	v_add_f64 v[36:37], v[39:40], -v[8:9]
	v_cmp_ngt_f64_e64 s5, 0, v[26:27]
	v_add_f64 v[28:29], v[28:29], v[39:40]
	v_cmp_ngt_f64_e32 vcc_lo, 0, v[36:37]
	v_fma_f64 v[28:29], 0x3fd00000, v[28:29], -v[8:9]
	v_cmp_ngt_f64_e64 s4, 0, v[28:29]
	s_or_b32 s4, vcc_lo, s4
	s_or_b32 s4, s4, s5
	s_and_b32 exec_lo, exec_lo, s4
	s_cbranch_execz .LBB1_5
; %bb.120:                              ;   in Loop: Header=BB1_6 Depth=1
	v_cmp_le_f64_e32 vcc_lo, 0, v[18:19]
	v_cmp_le_f64_e64 s4, 0, v[16:17]
	v_cmp_le_f64_e64 s5, 0, v[10:11]
	v_cmp_gt_f64_e64 s6, 1.0, v[18:19]
	v_cmp_gt_f64_e64 s7, 1.0, v[16:17]
	;; [unrolled: 1-line block ×3, first 2 shown]
	v_cmp_le_f64_e64 s9, 0, v[24:25]
	v_cmp_le_f64_e64 s10, 0, v[22:23]
	;; [unrolled: 1-line block ×3, first 2 shown]
	v_cmp_gt_f64_e64 s12, 1.0, v[24:25]
	v_cmp_gt_f64_e64 s13, 1.0, v[22:23]
	;; [unrolled: 1-line block ×3, first 2 shown]
	v_mov_b32_e32 v10, 8
	s_and_b32 s4, vcc_lo, s4
	s_and_b32 s4, s4, s5
	s_and_b32 s4, s6, s4
	;; [unrolled: 1-line block ×10, first 2 shown]
	s_and_saveexec_b32 s9, s4
	s_cbranch_execz .LBB1_4
; %bb.121:                              ;   in Loop: Header=BB1_6 Depth=1
	v_cmp_nge_f64_e32 vcc_lo, v[36:37], v[34:35]
	v_cmp_nge_f64_e64 s4, v[28:29], v[34:35]
	v_cmp_nge_f64_e64 s5, v[26:27], v[34:35]
	v_mov_b32_e32 v10, 4
	s_or_b32 s4, vcc_lo, s4
	s_or_b32 s4, s4, s5
	s_and_saveexec_b32 s10, s4
	s_cbranch_execz .LBB1_3
; %bb.122:                              ;   in Loop: Header=BB1_6 Depth=1
	v_cmp_le_f64_e32 vcc_lo, 0, v[36:37]
	v_cmp_le_f64_e64 s4, 0, v[28:29]
	v_cmp_le_f64_e64 s5, 0, v[26:27]
	v_cmp_lt_f64_e64 s6, v[36:37], v[34:35]
	v_cmp_lt_f64_e64 s7, v[28:29], v[34:35]
	;; [unrolled: 1-line block ×3, first 2 shown]
	s_and_b32 s4, vcc_lo, s4
	s_and_b32 s4, s4, s5
	s_and_b32 s4, s6, s4
	;; [unrolled: 1-line block ×3, first 2 shown]
	s_and_b32 vcc_lo, s4, s8
	v_cndmask_b32_e32 v10, 8, v38, vcc_lo
	s_branch .LBB1_3
.LBB1_123:                              ;   in Loop: Header=BB1_6 Depth=1
	s_mov_b32 s9, 5
	s_mov_b32 s7, 7
	;; [unrolled: 1-line block ×7, first 2 shown]
	s_and_b32 vcc_lo, exec_lo, s4
	s_cbranch_vccnz .LBB1_114
	s_branch .LBB1_115
.LBB1_124:
	buffer_load_dword v10, off, s[0:3], 0 offset:8
	v_and_b32_e32 v11, 63, v30
	s_mov_b32 s10, 0
	s_mov_b32 s5, exec_lo
	v_mul_u32_u24_e32 v69, 0xf8, v11
	s_waitcnt vmcnt(0)
	v_and_b32_e32 v17, 1, v10
	v_bfe_u32 v19, v10, 1, 1
	v_and_b32_e32 v18, 2, v10
	v_bfe_u32 v21, v10, 2, 1
	v_and_b32_e32 v20, 4, v10
	v_cmp_eq_u32_e32 vcc_lo, 1, v17
	v_bfe_u32 v23, v10, 3, 1
	v_and_b32_e32 v22, 8, v10
	v_bfe_u32 v25, v10, 4, 1
	v_and_b32_e32 v24, 16, v10
	v_cndmask_b32_e64 v26, 0, 0x100, vcc_lo
	v_cmp_eq_u32_e32 vcc_lo, 0, v17
	v_and_b32_e32 v16, 32, v10
	v_cndmask_b32_e64 v27, 0, 1, vcc_lo
	v_cmp_eq_u32_e32 vcc_lo, 3, v17
	v_cndmask_b32_e64 v28, 0, 0x100, vcc_lo
	v_cmp_eq_u32_e32 vcc_lo, 2, v17
	;; [unrolled: 2-line block ×22, first 2 shown]
	v_add_nc_u32_e32 v17, v19, v17
	v_or_b32_e32 v19, v27, v26
	v_or_b32_sdwa v26, v29, v28 dst_sel:WORD_1 dst_unused:UNUSED_PAD src0_sel:DWORD src1_sel:DWORD
	v_or_b32_e32 v27, v37, v36
	v_cndmask_b32_e64 v55, 0, 1, vcc_lo
	v_or_b32_sdwa v28, v39, v38 dst_sel:WORD_1 dst_unused:UNUSED_PAD src0_sel:DWORD src1_sel:DWORD
	v_or_b32_e32 v29, v41, v40
	v_or_b32_sdwa v36, v43, v42 dst_sel:WORD_1 dst_unused:UNUSED_PAD src0_sel:DWORD src1_sel:DWORD
	v_or_b32_e32 v37, v45, v44
	;; [unrolled: 2-line block ×4, first 2 shown]
	v_or_b32_sdwa v42, v55, v54 dst_sel:WORD_1 dst_unused:UNUSED_PAD src0_sel:DWORD src1_sel:DWORD
	v_or_b32_sdwa v19, v19, v26 dst_sel:DWORD dst_unused:UNUSED_PAD src0_sel:WORD_0 src1_sel:DWORD
	v_or_b32_sdwa v26, v27, v28 dst_sel:DWORD dst_unused:UNUSED_PAD src0_sel:WORD_0 src1_sel:DWORD
	;; [unrolled: 1-line block ×3, first 2 shown]
	v_cmp_ne_u32_e32 vcc_lo, 0, v18
	v_or_b32_sdwa v28, v41, v42 dst_sel:DWORD dst_unused:UNUSED_PAD src0_sel:WORD_0 src1_sel:DWORD
	v_or_b32_sdwa v18, v37, v38 dst_sel:DWORD dst_unused:UNUSED_PAD src0_sel:WORD_0 src1_sel:DWORD
	;; [unrolled: 1-line block ×3, first 2 shown]
	v_add_nc_u32_e32 v21, v17, v21
	v_cndmask_b32_e32 v27, 0, v27, vcc_lo
	v_cndmask_b32_e32 v28, 0, v28, vcc_lo
	;; [unrolled: 1-line block ×6, first 2 shown]
	v_cmp_ne_u32_e32 vcc_lo, 0, v17
	v_lshrrev_b32_e32 v49, 8, v18
	v_lshrrev_b32_e32 v37, 8, v19
	v_lshrrev_b32_e32 v38, 24, v19
	v_lshrrev_b32_e32 v39, 16, v19
	v_cndmask_b32_e32 v36, 2, v19, vcc_lo
	v_cmp_ne_u32_e32 vcc_lo, 4, v17
	v_lshrrev_b32_e32 v41, 8, v26
	v_lshrrev_b32_e32 v42, 24, v26
	v_lshrrev_b32_e32 v43, 16, v26
	v_lshrrev_b32_e32 v45, 8, v29
	v_cndmask_b32_e32 v40, 2, v26, vcc_lo
	;; [unrolled: 6-line block ×4, first 2 shown]
	v_cmp_ne_u32_e32 vcc_lo, 16, v17
	v_lshrrev_b32_e32 v58, 24, v28
	v_lshrrev_b32_e32 v59, 16, v28
	v_add_nc_u32_e32 v23, v21, v23
	v_cndmask_b32_e32 v52, 2, v27, vcc_lo
	v_cmp_ne_u32_e32 vcc_lo, 20, v17
	v_add_nc_u32_e32 v25, v23, v25
	v_cndmask_b32_e32 v56, 2, v28, vcc_lo
	v_cmp_ne_u32_e32 vcc_lo, 1, v17
	v_cmp_ne_u32_e64 s4, 13, v25
	v_cndmask_b32_e32 v37, 2, v37, vcc_lo
	v_cmp_ne_u32_e32 vcc_lo, 3, v17
	v_lshlrev_b16 v37, 8, v37
	v_cndmask_b32_e32 v38, 2, v38, vcc_lo
	v_cmp_ne_u32_e32 vcc_lo, 2, v17
	v_or_b32_sdwa v36, v36, v37 dst_sel:DWORD dst_unused:UNUSED_PAD src0_sel:BYTE_0 src1_sel:DWORD
	v_lshlrev_b16 v38, 8, v38
	v_cndmask_b32_e32 v39, 2, v39, vcc_lo
	v_cmp_ne_u32_e32 vcc_lo, 5, v17
	v_or_b32_sdwa v37, v39, v38 dst_sel:WORD_1 dst_unused:UNUSED_PAD src0_sel:BYTE_0 src1_sel:DWORD
	v_cndmask_b32_e32 v41, 2, v41, vcc_lo
	v_cmp_ne_u32_e32 vcc_lo, 7, v17
	v_lshlrev_b16 v41, 8, v41
	v_cndmask_b32_e32 v42, 2, v42, vcc_lo
	v_cmp_ne_u32_e32 vcc_lo, 6, v17
	v_or_b32_sdwa v38, v40, v41 dst_sel:DWORD dst_unused:UNUSED_PAD src0_sel:BYTE_0 src1_sel:DWORD
	v_lshlrev_b16 v42, 8, v42
	v_cndmask_b32_e32 v43, 2, v43, vcc_lo
	v_cmp_ne_u32_e32 vcc_lo, 9, v17
	v_or_b32_sdwa v39, v43, v42 dst_sel:WORD_1 dst_unused:UNUSED_PAD src0_sel:BYTE_0 src1_sel:DWORD
	;; [unrolled: 10-line block ×5, first 2 shown]
	v_cndmask_b32_e32 v57, 2, v57, vcc_lo
	v_cmp_ne_u32_e32 vcc_lo, 23, v17
	v_lshlrev_b16 v57, 8, v57
	v_cndmask_b32_e32 v58, 2, v58, vcc_lo
	v_cmp_ne_u32_e32 vcc_lo, 22, v17
	v_or_b32_sdwa v42, v56, v57 dst_sel:DWORD dst_unused:UNUSED_PAD src0_sel:BYTE_0 src1_sel:DWORD
	v_lshlrev_b16 v58, 8, v58
	v_cndmask_b32_e32 v17, 2, v59, vcc_lo
	v_cmp_eq_u32_e32 vcc_lo, 0, v20
	v_or_b32_sdwa v20, v36, v37 dst_sel:DWORD dst_unused:UNUSED_PAD src0_sel:WORD_0 src1_sel:DWORD
	v_or_b32_sdwa v36, v44, v45 dst_sel:DWORD dst_unused:UNUSED_PAD src0_sel:WORD_0 src1_sel:DWORD
	;; [unrolled: 1-line block ×3, first 2 shown]
	v_or_b32_sdwa v17, v17, v58 dst_sel:WORD_1 dst_unused:UNUSED_PAD src0_sel:BYTE_0 src1_sel:DWORD
	v_or_b32_sdwa v38, v43, v46 dst_sel:DWORD dst_unused:UNUSED_PAD src0_sel:WORD_0 src1_sel:DWORD
	v_or_b32_sdwa v39, v40, v41 dst_sel:DWORD dst_unused:UNUSED_PAD src0_sel:WORD_0 src1_sel:DWORD
	v_cndmask_b32_e32 v27, v36, v27, vcc_lo
	v_cndmask_b32_e32 v19, v20, v19, vcc_lo
	v_or_b32_sdwa v17, v42, v17 dst_sel:DWORD dst_unused:UNUSED_PAD src0_sel:WORD_0 src1_sel:DWORD
	v_cndmask_b32_e32 v18, v38, v18, vcc_lo
	v_cndmask_b32_e32 v20, v39, v29, vcc_lo
	;; [unrolled: 1-line block ×3, first 2 shown]
	v_lshrrev_b32_e32 v29, 8, v19
	v_cndmask_b32_e32 v17, v17, v28, vcc_lo
	v_cmp_ne_u32_e32 vcc_lo, 0, v21
	v_lshrrev_b32_e32 v36, 24, v19
	v_lshrrev_b32_e32 v37, 16, v19
	v_lshrrev_b32_e32 v39, 8, v26
	v_lshrrev_b32_e32 v40, 24, v26
	v_cndmask_b32_e32 v28, 3, v19, vcc_lo
	v_cmp_ne_u32_e32 vcc_lo, 4, v21
	v_lshrrev_b32_e32 v41, 16, v26
	v_lshrrev_b32_e32 v43, 8, v20
	v_lshrrev_b32_e32 v44, 24, v20
	;; [unrolled: 6-line block ×4, first 2 shown]
	v_lshrrev_b32_e32 v56, 24, v17
	v_cndmask_b32_e32 v46, 3, v18, vcc_lo
	v_cmp_ne_u32_e32 vcc_lo, 16, v21
	v_lshrrev_b32_e32 v57, 16, v17
	v_cndmask_b32_e32 v50, 3, v27, vcc_lo
	v_cmp_ne_u32_e32 vcc_lo, 20, v21
	v_cndmask_b32_e32 v54, 3, v17, vcc_lo
	v_cmp_ne_u32_e32 vcc_lo, 1, v21
	;; [unrolled: 2-line block ×3, first 2 shown]
	v_lshlrev_b16 v29, 8, v29
	v_cndmask_b32_e32 v36, 3, v36, vcc_lo
	v_cmp_ne_u32_e32 vcc_lo, 2, v21
	v_or_b32_sdwa v28, v28, v29 dst_sel:DWORD dst_unused:UNUSED_PAD src0_sel:BYTE_0 src1_sel:DWORD
	v_lshlrev_b16 v36, 8, v36
	v_cndmask_b32_e32 v37, 3, v37, vcc_lo
	v_cmp_ne_u32_e32 vcc_lo, 5, v21
	v_or_b32_sdwa v29, v37, v36 dst_sel:WORD_1 dst_unused:UNUSED_PAD src0_sel:BYTE_0 src1_sel:DWORD
	v_cndmask_b32_e32 v39, 3, v39, vcc_lo
	v_cmp_ne_u32_e32 vcc_lo, 7, v21
	v_lshlrev_b16 v39, 8, v39
	v_cndmask_b32_e32 v40, 3, v40, vcc_lo
	v_cmp_ne_u32_e32 vcc_lo, 6, v21
	v_or_b32_sdwa v36, v38, v39 dst_sel:DWORD dst_unused:UNUSED_PAD src0_sel:BYTE_0 src1_sel:DWORD
	v_lshlrev_b16 v40, 8, v40
	v_cndmask_b32_e32 v41, 3, v41, vcc_lo
	v_cmp_ne_u32_e32 vcc_lo, 9, v21
	v_or_b32_sdwa v37, v41, v40 dst_sel:WORD_1 dst_unused:UNUSED_PAD src0_sel:BYTE_0 src1_sel:DWORD
	v_cndmask_b32_e32 v43, 3, v43, vcc_lo
	v_cmp_ne_u32_e32 vcc_lo, 11, v21
	;; [unrolled: 10-line block ×5, first 2 shown]
	v_lshlrev_b16 v55, 8, v55
	v_cndmask_b32_e32 v56, 3, v56, vcc_lo
	v_cmp_ne_u32_e32 vcc_lo, 22, v21
	v_or_b32_sdwa v40, v54, v55 dst_sel:DWORD dst_unused:UNUSED_PAD src0_sel:BYTE_0 src1_sel:DWORD
	v_lshlrev_b16 v56, 8, v56
	v_cndmask_b32_e32 v21, 3, v57, vcc_lo
	v_cmp_eq_u32_e32 vcc_lo, 0, v22
	v_or_b32_sdwa v22, v28, v29 dst_sel:DWORD dst_unused:UNUSED_PAD src0_sel:WORD_0 src1_sel:DWORD
	v_or_b32_sdwa v28, v42, v43 dst_sel:DWORD dst_unused:UNUSED_PAD src0_sel:WORD_0 src1_sel:DWORD
	;; [unrolled: 1-line block ×3, first 2 shown]
	v_or_b32_sdwa v21, v21, v56 dst_sel:WORD_1 dst_unused:UNUSED_PAD src0_sel:BYTE_0 src1_sel:DWORD
	v_or_b32_sdwa v36, v41, v44 dst_sel:DWORD dst_unused:UNUSED_PAD src0_sel:WORD_0 src1_sel:DWORD
	v_or_b32_sdwa v37, v38, v39 dst_sel:DWORD dst_unused:UNUSED_PAD src0_sel:WORD_0 src1_sel:DWORD
	v_cndmask_b32_e32 v19, v22, v19, vcc_lo
	v_cndmask_b32_e32 v22, v29, v26, vcc_lo
	v_or_b32_sdwa v21, v40, v21 dst_sel:DWORD dst_unused:UNUSED_PAD src0_sel:WORD_0 src1_sel:DWORD
	v_cndmask_b32_e32 v18, v36, v18, vcc_lo
	v_cndmask_b32_e32 v20, v37, v20, vcc_lo
	v_lshrrev_b32_e32 v29, 16, v19
	v_lshrrev_b32_e32 v37, 8, v22
	v_cndmask_b32_e32 v17, v21, v17, vcc_lo
	v_cndmask_b32_e32 v21, v28, v27, vcc_lo
	v_cmp_ne_u32_e32 vcc_lo, 0, v23
	v_lshrrev_b32_e32 v27, 8, v19
	v_lshrrev_b32_e32 v28, 24, v19
	v_lshrrev_b32_e32 v38, 24, v22
	v_lshrrev_b32_e32 v39, 16, v22
	v_cndmask_b32_e32 v26, 4, v19, vcc_lo
	v_cmp_ne_u32_e32 vcc_lo, 4, v23
	v_lshrrev_b32_e32 v41, 8, v20
	v_lshrrev_b32_e32 v42, 24, v20
	v_lshrrev_b32_e32 v43, 16, v20
	v_lshrrev_b32_e32 v45, 8, v18
	;; [unrolled: 6-line block ×4, first 2 shown]
	v_cndmask_b32_e32 v44, 4, v18, vcc_lo
	v_cmp_ne_u32_e32 vcc_lo, 16, v23
	v_cndmask_b32_e32 v48, 4, v21, vcc_lo
	v_cmp_ne_u32_e32 vcc_lo, 20, v23
	;; [unrolled: 2-line block ×4, first 2 shown]
	v_lshlrev_b16 v27, 8, v27
	v_cndmask_b32_e32 v28, 4, v28, vcc_lo
	v_cmp_ne_u32_e32 vcc_lo, 2, v23
	v_or_b32_sdwa v26, v26, v27 dst_sel:DWORD dst_unused:UNUSED_PAD src0_sel:BYTE_0 src1_sel:DWORD
	v_lshlrev_b16 v28, 8, v28
	v_cndmask_b32_e32 v29, 4, v29, vcc_lo
	v_cmp_ne_u32_e32 vcc_lo, 5, v23
	v_or_b32_sdwa v27, v29, v28 dst_sel:WORD_1 dst_unused:UNUSED_PAD src0_sel:BYTE_0 src1_sel:DWORD
	v_cndmask_b32_e32 v37, 4, v37, vcc_lo
	v_cmp_ne_u32_e32 vcc_lo, 7, v23
	v_lshlrev_b16 v37, 8, v37
	v_cndmask_b32_e32 v38, 4, v38, vcc_lo
	v_cmp_ne_u32_e32 vcc_lo, 6, v23
	v_or_b32_sdwa v28, v36, v37 dst_sel:DWORD dst_unused:UNUSED_PAD src0_sel:BYTE_0 src1_sel:DWORD
	v_lshlrev_b16 v38, 8, v38
	v_cndmask_b32_e32 v39, 4, v39, vcc_lo
	v_cmp_ne_u32_e32 vcc_lo, 9, v23
	v_or_b32_sdwa v29, v39, v38 dst_sel:WORD_1 dst_unused:UNUSED_PAD src0_sel:BYTE_0 src1_sel:DWORD
	v_cndmask_b32_e32 v41, 4, v41, vcc_lo
	v_cmp_ne_u32_e32 vcc_lo, 11, v23
	;; [unrolled: 10-line block ×5, first 2 shown]
	v_lshlrev_b16 v53, 8, v53
	v_cndmask_b32_e32 v54, 4, v54, vcc_lo
	v_cmp_ne_u32_e32 vcc_lo, 22, v23
	v_or_b32_sdwa v38, v52, v53 dst_sel:DWORD dst_unused:UNUSED_PAD src0_sel:BYTE_0 src1_sel:DWORD
	v_lshlrev_b16 v54, 8, v54
	v_cndmask_b32_e32 v23, 4, v55, vcc_lo
	v_cmp_eq_u32_e32 vcc_lo, 0, v24
	v_or_b32_sdwa v24, v26, v27 dst_sel:DWORD dst_unused:UNUSED_PAD src0_sel:WORD_0 src1_sel:DWORD
	v_or_b32_sdwa v26, v40, v41 dst_sel:DWORD dst_unused:UNUSED_PAD src0_sel:WORD_0 src1_sel:DWORD
	;; [unrolled: 1-line block ×3, first 2 shown]
	v_or_b32_sdwa v23, v23, v54 dst_sel:WORD_1 dst_unused:UNUSED_PAD src0_sel:BYTE_0 src1_sel:DWORD
	v_or_b32_sdwa v28, v39, v42 dst_sel:DWORD dst_unused:UNUSED_PAD src0_sel:WORD_0 src1_sel:DWORD
	v_or_b32_sdwa v29, v36, v37 dst_sel:DWORD dst_unused:UNUSED_PAD src0_sel:WORD_0 src1_sel:DWORD
	v_cndmask_b32_e32 v21, v26, v21, vcc_lo
	v_cndmask_b32_e32 v19, v24, v19, vcc_lo
	v_or_b32_sdwa v23, v38, v23 dst_sel:DWORD dst_unused:UNUSED_PAD src0_sel:WORD_0 src1_sel:DWORD
	v_cndmask_b32_e32 v18, v28, v18, vcc_lo
	v_cndmask_b32_e32 v20, v29, v20, vcc_lo
	;; [unrolled: 1-line block ×3, first 2 shown]
	v_lshrrev_b32_e32 v24, 8, v19
	v_cndmask_b32_e32 v17, v23, v17, vcc_lo
	v_cmp_ne_u32_e32 vcc_lo, 0, v25
	v_lshrrev_b32_e32 v26, 24, v19
	v_lshrrev_b32_e32 v27, 16, v19
	v_lshrrev_b32_e32 v29, 8, v22
	v_lshrrev_b32_e32 v36, 24, v22
	v_cndmask_b32_e32 v23, 5, v19, vcc_lo
	v_cmp_ne_u32_e32 vcc_lo, 4, v25
	v_lshrrev_b32_e32 v37, 16, v22
	v_lshrrev_b32_e32 v39, 8, v20
	v_lshrrev_b32_e32 v40, 24, v20
	;; [unrolled: 6-line block ×3, first 2 shown]
	v_cndmask_b32_e32 v38, 5, v20, vcc_lo
	v_cmp_ne_u32_e32 vcc_lo, 20, v25
	v_cndmask_b32_e32 v42, 5, v17, vcc_lo
	v_cmp_ne_u32_e32 vcc_lo, 1, v25
	;; [unrolled: 2-line block ×3, first 2 shown]
	v_lshlrev_b16 v24, 8, v24
	v_cndmask_b32_e32 v26, 5, v26, vcc_lo
	v_cmp_ne_u32_e32 vcc_lo, 2, v25
	v_or_b32_sdwa v23, v23, v24 dst_sel:DWORD dst_unused:UNUSED_PAD src0_sel:BYTE_0 src1_sel:DWORD
	v_lshlrev_b16 v26, 8, v26
	v_cndmask_b32_e32 v27, 5, v27, vcc_lo
	v_cmp_ne_u32_e32 vcc_lo, 5, v25
	v_or_b32_sdwa v26, v27, v26 dst_sel:WORD_1 dst_unused:UNUSED_PAD src0_sel:BYTE_0 src1_sel:DWORD
	v_cndmask_b32_e32 v29, 5, v29, vcc_lo
	v_cmp_ne_u32_e32 vcc_lo, 7, v25
	v_or_b32_sdwa v23, v23, v26 dst_sel:DWORD dst_unused:UNUSED_PAD src0_sel:WORD_0 src1_sel:DWORD
	v_lshlrev_b16 v29, 8, v29
	v_cndmask_b32_e32 v36, 5, v36, vcc_lo
	v_cmp_ne_u32_e32 vcc_lo, 6, v25
	v_or_b32_sdwa v27, v28, v29 dst_sel:DWORD dst_unused:UNUSED_PAD src0_sel:BYTE_0 src1_sel:DWORD
	v_lshlrev_b16 v36, 8, v36
	v_cndmask_b32_e32 v37, 5, v37, vcc_lo
	v_cmp_ne_u32_e32 vcc_lo, 9, v25
	v_or_b32_sdwa v28, v37, v36 dst_sel:WORD_1 dst_unused:UNUSED_PAD src0_sel:BYTE_0 src1_sel:DWORD
	v_cndmask_b32_e32 v39, 5, v39, vcc_lo
	v_cmp_ne_u32_e32 vcc_lo, 11, v25
	v_lshrrev_b32_e32 v36, 24, v18
	v_lshrrev_b32_e32 v37, 16, v20
	v_or_b32_sdwa v26, v27, v28 dst_sel:DWORD dst_unused:UNUSED_PAD src0_sel:WORD_0 src1_sel:DWORD
	v_lshlrev_b16 v39, 8, v39
	v_cndmask_b32_e32 v40, 5, v40, vcc_lo
	v_cmp_ne_u32_e32 vcc_lo, 21, v25
	v_or_b32_sdwa v29, v38, v39 dst_sel:DWORD dst_unused:UNUSED_PAD src0_sel:BYTE_0 src1_sel:DWORD
	v_cndmask_b32_e64 v38, 5, v41, s4
	v_cndmask_b32_e32 v43, 5, v43, vcc_lo
	v_cmp_ne_u32_e32 vcc_lo, 23, v25
	v_cmp_ne_u32_e64 s4, 15, v25
	v_lshrrev_b32_e32 v41, 8, v21
	v_lshlrev_b16 v38, 8, v38
	v_lshlrev_b16 v43, 8, v43
	v_cndmask_b32_e32 v44, 5, v44, vcc_lo
	v_cmp_ne_u32_e32 vcc_lo, 22, v25
	v_cndmask_b32_e64 v36, 5, v36, s4
	v_cmp_ne_u32_e64 s4, 12, v25
	v_or_b32_sdwa v24, v42, v43 dst_sel:DWORD dst_unused:UNUSED_PAD src0_sel:BYTE_0 src1_sel:DWORD
	v_lshlrev_b16 v44, 8, v44
	v_cndmask_b32_e32 v45, 5, v45, vcc_lo
	v_cmp_eq_u32_e32 vcc_lo, 0, v16
	v_lshlrev_b16 v16, 8, v40
	v_cndmask_b32_e64 v39, 5, v18, s4
	v_lshrrev_b32_e32 v40, 16, v18
	v_cmp_ne_u32_e64 s4, 14, v25
	v_or_b32_sdwa v42, v45, v44 dst_sel:WORD_1 dst_unused:UNUSED_PAD src0_sel:BYTE_0 src1_sel:DWORD
	v_lshrrev_b32_e32 v43, 16, v21
	v_lshlrev_b16 v36, 8, v36
	v_or_b32_sdwa v38, v39, v38 dst_sel:DWORD dst_unused:UNUSED_PAD src0_sel:BYTE_0 src1_sel:DWORD
	v_cndmask_b32_e64 v40, 5, v40, s4
	v_cmp_ne_u32_e64 s4, 17, v25
	v_or_b32_sdwa v24, v24, v42 dst_sel:DWORD dst_unused:UNUSED_PAD src0_sel:WORD_0 src1_sel:DWORD
	v_lshrrev_b32_e32 v42, 24, v21
	v_cndmask_b32_e32 v19, v23, v19, vcc_lo
	v_or_b32_sdwa v36, v40, v36 dst_sel:WORD_1 dst_unused:UNUSED_PAD src0_sel:BYTE_0 src1_sel:DWORD
	v_cndmask_b32_e64 v41, 5, v41, s4
	v_cmp_ne_u32_e64 s4, 19, v25
	v_cndmask_b32_e32 v17, v24, v17, vcc_lo
	v_lshrrev_b32_e32 v24, 8, v19
	v_or_b32_sdwa v28, v38, v36 dst_sel:DWORD dst_unused:UNUSED_PAD src0_sel:WORD_0 src1_sel:DWORD
	v_lshlrev_b16 v41, 8, v41
	v_cndmask_b32_e64 v42, 5, v42, s4
	v_cmp_ne_u32_e64 s4, 16, v25
	v_cndmask_b32_e32 v18, v28, v18, vcc_lo
	v_lshrrev_b32_e32 v28, 24, v19
	v_lshlrev_b16 v42, 8, v42
	v_cndmask_b32_e64 v44, 5, v21, s4
	v_cmp_ne_u32_e64 s4, 18, v25
	v_lshrrev_b32_e32 v40, 16, v18
	v_or_b32_sdwa v39, v44, v41 dst_sel:DWORD dst_unused:UNUSED_PAD src0_sel:BYTE_0 src1_sel:DWORD
	v_cndmask_b32_e64 v43, 5, v43, s4
	v_cmp_ne_u32_e64 s4, 10, v25
	v_or_b32_sdwa v41, v43, v42 dst_sel:WORD_1 dst_unused:UNUSED_PAD src0_sel:BYTE_0 src1_sel:DWORD
	v_cndmask_b32_e64 v37, 5, v37, s4
	v_or_b32_sdwa v27, v39, v41 dst_sel:DWORD dst_unused:UNUSED_PAD src0_sel:WORD_0 src1_sel:DWORD
	v_or_b32_sdwa v16, v37, v16 dst_sel:WORD_1 dst_unused:UNUSED_PAD src0_sel:BYTE_0 src1_sel:DWORD
	v_lshrrev_b32_e32 v37, 16, v19
	v_cndmask_b32_e32 v21, v27, v21, vcc_lo
	v_or_b32_sdwa v16, v29, v16 dst_sel:DWORD dst_unused:UNUSED_PAD src0_sel:WORD_0 src1_sel:DWORD
	v_bfe_u32 v29, v10, 5, 1
	v_lshrrev_b32_e32 v27, 24, v17
	v_lshrrev_b32_e32 v41, 8, v21
	v_cndmask_b32_e32 v16, v16, v20, vcc_lo
	v_add_nc_u32_e32 v23, v25, v29
	v_cndmask_b32_e32 v20, v26, v22, vcc_lo
	v_lshrrev_b32_e32 v26, 8, v17
	v_lshrrev_b32_e32 v29, 16, v17
	v_and_b32_e32 v22, 64, v10
	v_cmp_ne_u32_e32 vcc_lo, 0, v23
	v_cmp_ne_u32_e64 s4, 5, v23
	v_lshrrev_b32_e32 v42, 24, v21
	v_lshrrev_b32_e32 v43, 16, v21
	v_cndmask_b32_e32 v25, 6, v19, vcc_lo
	v_cmp_ne_u32_e32 vcc_lo, 1, v23
	v_cndmask_b32_e32 v24, 6, v24, vcc_lo
	v_cmp_ne_u32_e32 vcc_lo, 21, v23
	v_lshlrev_b16 v24, 8, v24
	v_cndmask_b32_e32 v26, 6, v26, vcc_lo
	v_cmp_ne_u32_e32 vcc_lo, 23, v23
	v_or_b32_sdwa v24, v25, v24 dst_sel:DWORD dst_unused:UNUSED_PAD src0_sel:BYTE_0 src1_sel:DWORD
	v_lshlrev_b16 v26, 8, v26
	v_cndmask_b32_e32 v27, 6, v27, vcc_lo
	v_cmp_ne_u32_e32 vcc_lo, 20, v23
	v_lshrrev_b32_e32 v25, 24, v20
	v_lshlrev_b16 v27, 8, v27
	v_cndmask_b32_e32 v36, 6, v17, vcc_lo
	v_cmp_ne_u32_e32 vcc_lo, 22, v23
	v_or_b32_sdwa v26, v36, v26 dst_sel:DWORD dst_unused:UNUSED_PAD src0_sel:BYTE_0 src1_sel:DWORD
	v_cndmask_b32_e32 v29, 6, v29, vcc_lo
	v_cmp_ne_u32_e32 vcc_lo, 3, v23
	v_lshrrev_b32_e32 v36, 16, v20
	v_or_b32_sdwa v27, v29, v27 dst_sel:WORD_1 dst_unused:UNUSED_PAD src0_sel:BYTE_0 src1_sel:DWORD
	v_cndmask_b32_e32 v28, 6, v28, vcc_lo
	v_cmp_ne_u32_e32 vcc_lo, 2, v23
	v_or_b32_sdwa v26, v26, v27 dst_sel:DWORD dst_unused:UNUSED_PAD src0_sel:WORD_0 src1_sel:DWORD
	v_lshlrev_b16 v28, 8, v28
	v_cndmask_b32_e32 v29, 6, v37, vcc_lo
	v_cmp_eq_u32_e32 vcc_lo, 0, v22
	v_lshrrev_b32_e32 v22, 8, v20
	v_lshrrev_b32_e32 v37, 24, v16
	v_or_b32_sdwa v27, v29, v28 dst_sel:WORD_1 dst_unused:UNUSED_PAD src0_sel:BYTE_0 src1_sel:DWORD
	v_lshrrev_b32_e32 v29, 8, v16
	v_cndmask_b32_e64 v22, 6, v22, s4
	v_cmp_ne_u32_e64 s4, 7, v23
	v_cndmask_b32_e32 v17, v26, v17, vcc_lo
	v_or_b32_sdwa v24, v24, v27 dst_sel:DWORD dst_unused:UNUSED_PAD src0_sel:WORD_0 src1_sel:DWORD
	v_lshlrev_b16 v22, 8, v22
	v_cndmask_b32_e64 v25, 6, v25, s4
	v_cmp_ne_u32_e64 s4, 4, v23
	v_cndmask_b32_e32 v19, v24, v19, vcc_lo
	v_lshrrev_b32_e32 v26, 8, v17
	v_lshlrev_b16 v25, 8, v25
	v_cndmask_b32_e64 v28, 6, v20, s4
	v_cmp_ne_u32_e64 s4, 9, v23
	v_lshrrev_b32_e32 v24, 8, v19
	v_or_b32_sdwa v22, v28, v22 dst_sel:DWORD dst_unused:UNUSED_PAD src0_sel:BYTE_0 src1_sel:DWORD
	v_cndmask_b32_e64 v29, 6, v29, s4
	v_cmp_ne_u32_e64 s4, 6, v23
	v_lshlrev_b16 v29, 8, v29
	v_cndmask_b32_e64 v36, 6, v36, s4
	v_cmp_ne_u32_e64 s4, 8, v23
	v_or_b32_sdwa v25, v36, v25 dst_sel:WORD_1 dst_unused:UNUSED_PAD src0_sel:BYTE_0 src1_sel:DWORD
	v_cndmask_b32_e64 v38, 6, v16, s4
	v_cmp_ne_u32_e64 s4, 11, v23
	v_or_b32_sdwa v22, v22, v25 dst_sel:DWORD dst_unused:UNUSED_PAD src0_sel:WORD_0 src1_sel:DWORD
	v_or_b32_sdwa v28, v38, v29 dst_sel:DWORD dst_unused:UNUSED_PAD src0_sel:BYTE_0 src1_sel:DWORD
	v_cndmask_b32_e64 v37, 6, v37, s4
	v_lshrrev_b32_e32 v29, 8, v18
	v_cmp_ne_u32_e64 s4, 13, v23
	v_lshrrev_b32_e32 v38, 16, v16
	v_cndmask_b32_e32 v20, v22, v20, vcc_lo
	v_lshlrev_b16 v36, 8, v37
	v_lshrrev_b32_e32 v37, 24, v18
	v_cndmask_b32_e64 v29, 6, v29, s4
	v_cmp_ne_u32_e64 s4, 15, v23
	v_and_b32_e32 v22, 0x80, v10
	v_lshlrev_b16 v29, 8, v29
	v_cndmask_b32_e64 v37, 6, v37, s4
	v_cmp_ne_u32_e64 s4, 12, v23
	v_lshlrev_b16 v37, 8, v37
	v_cndmask_b32_e64 v39, 6, v18, s4
	v_cmp_ne_u32_e64 s4, 14, v23
	v_or_b32_sdwa v29, v39, v29 dst_sel:DWORD dst_unused:UNUSED_PAD src0_sel:BYTE_0 src1_sel:DWORD
	v_cndmask_b32_e64 v40, 6, v40, s4
	v_cmp_ne_u32_e64 s4, 17, v23
	v_or_b32_sdwa v37, v40, v37 dst_sel:WORD_1 dst_unused:UNUSED_PAD src0_sel:BYTE_0 src1_sel:DWORD
	v_cndmask_b32_e64 v41, 6, v41, s4
	v_cmp_ne_u32_e64 s4, 19, v23
	v_or_b32_sdwa v27, v29, v37 dst_sel:DWORD dst_unused:UNUSED_PAD src0_sel:WORD_0 src1_sel:DWORD
	v_lshlrev_b16 v41, 8, v41
	v_cndmask_b32_e64 v42, 6, v42, s4
	v_cmp_ne_u32_e64 s4, 16, v23
	v_bfe_u32 v29, v10, 6, 1
	v_cndmask_b32_e32 v18, v27, v18, vcc_lo
	v_lshrrev_b32_e32 v27, 24, v17
	v_lshlrev_b16 v42, 8, v42
	v_cndmask_b32_e64 v44, 6, v21, s4
	v_cmp_ne_u32_e64 s4, 18, v23
	v_lshrrev_b32_e32 v37, 16, v19
	v_lshrrev_b32_e32 v40, 16, v18
	v_or_b32_sdwa v39, v44, v41 dst_sel:DWORD dst_unused:UNUSED_PAD src0_sel:BYTE_0 src1_sel:DWORD
	v_cndmask_b32_e64 v43, 6, v43, s4
	v_cmp_ne_u32_e64 s4, 10, v23
	v_add_nc_u32_e32 v23, v23, v29
	v_lshrrev_b32_e32 v29, 16, v17
	v_or_b32_sdwa v41, v43, v42 dst_sel:WORD_1 dst_unused:UNUSED_PAD src0_sel:BYTE_0 src1_sel:DWORD
	v_cndmask_b32_e64 v38, 6, v38, s4
	v_cmp_ne_u32_e64 s4, 5, v23
	v_or_b32_sdwa v25, v39, v41 dst_sel:DWORD dst_unused:UNUSED_PAD src0_sel:WORD_0 src1_sel:DWORD
	v_or_b32_sdwa v36, v38, v36 dst_sel:WORD_1 dst_unused:UNUSED_PAD src0_sel:BYTE_0 src1_sel:DWORD
	v_cndmask_b32_e32 v21, v25, v21, vcc_lo
	v_or_b32_sdwa v28, v28, v36 dst_sel:DWORD dst_unused:UNUSED_PAD src0_sel:WORD_0 src1_sel:DWORD
	v_lshrrev_b32_e32 v41, 8, v21
	v_cndmask_b32_e32 v16, v28, v16, vcc_lo
	v_cmp_ne_u32_e32 vcc_lo, 0, v23
	v_lshrrev_b32_e32 v28, 24, v19
	v_lshrrev_b32_e32 v42, 24, v21
	;; [unrolled: 1-line block ×3, first 2 shown]
	v_cndmask_b32_e32 v25, 7, v19, vcc_lo
	v_cmp_ne_u32_e32 vcc_lo, 1, v23
	v_cndmask_b32_e32 v24, 7, v24, vcc_lo
	v_cmp_ne_u32_e32 vcc_lo, 21, v23
	v_lshlrev_b16 v24, 8, v24
	v_cndmask_b32_e32 v26, 7, v26, vcc_lo
	v_cmp_ne_u32_e32 vcc_lo, 23, v23
	v_or_b32_sdwa v24, v25, v24 dst_sel:DWORD dst_unused:UNUSED_PAD src0_sel:BYTE_0 src1_sel:DWORD
	v_lshlrev_b16 v26, 8, v26
	v_cndmask_b32_e32 v27, 7, v27, vcc_lo
	v_cmp_ne_u32_e32 vcc_lo, 20, v23
	v_lshrrev_b32_e32 v25, 24, v20
	v_lshlrev_b16 v27, 8, v27
	v_cndmask_b32_e32 v36, 7, v17, vcc_lo
	v_cmp_ne_u32_e32 vcc_lo, 22, v23
	v_or_b32_sdwa v26, v36, v26 dst_sel:DWORD dst_unused:UNUSED_PAD src0_sel:BYTE_0 src1_sel:DWORD
	v_cndmask_b32_e32 v29, 7, v29, vcc_lo
	v_cmp_ne_u32_e32 vcc_lo, 3, v23
	v_lshrrev_b32_e32 v36, 16, v20
	v_or_b32_sdwa v27, v29, v27 dst_sel:WORD_1 dst_unused:UNUSED_PAD src0_sel:BYTE_0 src1_sel:DWORD
	v_cndmask_b32_e32 v28, 7, v28, vcc_lo
	v_cmp_ne_u32_e32 vcc_lo, 2, v23
	v_or_b32_sdwa v26, v26, v27 dst_sel:DWORD dst_unused:UNUSED_PAD src0_sel:WORD_0 src1_sel:DWORD
	v_lshlrev_b16 v28, 8, v28
	v_cndmask_b32_e32 v29, 7, v37, vcc_lo
	v_cmp_eq_u32_e32 vcc_lo, 0, v22
	v_lshrrev_b32_e32 v22, 8, v20
	v_lshrrev_b32_e32 v37, 24, v16
	v_or_b32_sdwa v27, v29, v28 dst_sel:WORD_1 dst_unused:UNUSED_PAD src0_sel:BYTE_0 src1_sel:DWORD
	v_lshrrev_b32_e32 v29, 8, v16
	v_cndmask_b32_e64 v22, 7, v22, s4
	v_cmp_ne_u32_e64 s4, 7, v23
	v_cndmask_b32_e32 v17, v26, v17, vcc_lo
	v_or_b32_sdwa v24, v24, v27 dst_sel:DWORD dst_unused:UNUSED_PAD src0_sel:WORD_0 src1_sel:DWORD
	v_lshlrev_b16 v22, 8, v22
	v_cndmask_b32_e64 v25, 7, v25, s4
	v_cmp_ne_u32_e64 s4, 4, v23
	v_cndmask_b32_e32 v19, v24, v19, vcc_lo
	v_lshrrev_b32_e32 v26, 8, v17
	v_lshlrev_b16 v25, 8, v25
	v_cndmask_b32_e64 v28, 7, v20, s4
	v_cmp_ne_u32_e64 s4, 9, v23
	v_lshrrev_b32_e32 v24, 8, v19
	v_or_b32_sdwa v22, v28, v22 dst_sel:DWORD dst_unused:UNUSED_PAD src0_sel:BYTE_0 src1_sel:DWORD
	v_cndmask_b32_e64 v29, 7, v29, s4
	v_cmp_ne_u32_e64 s4, 6, v23
	v_lshlrev_b16 v29, 8, v29
	v_cndmask_b32_e64 v36, 7, v36, s4
	v_cmp_ne_u32_e64 s4, 8, v23
	v_or_b32_sdwa v25, v36, v25 dst_sel:WORD_1 dst_unused:UNUSED_PAD src0_sel:BYTE_0 src1_sel:DWORD
	v_cndmask_b32_e64 v38, 7, v16, s4
	v_cmp_ne_u32_e64 s4, 11, v23
	v_or_b32_sdwa v22, v22, v25 dst_sel:DWORD dst_unused:UNUSED_PAD src0_sel:WORD_0 src1_sel:DWORD
	v_or_b32_sdwa v28, v38, v29 dst_sel:DWORD dst_unused:UNUSED_PAD src0_sel:BYTE_0 src1_sel:DWORD
	v_cndmask_b32_e64 v37, 7, v37, s4
	v_lshrrev_b32_e32 v29, 8, v18
	v_cmp_ne_u32_e64 s4, 13, v23
	v_lshrrev_b32_e32 v38, 16, v16
	v_cndmask_b32_e32 v20, v22, v20, vcc_lo
	v_lshlrev_b16 v36, 8, v37
	v_lshrrev_b32_e32 v37, 24, v18
	v_cndmask_b32_e64 v29, 7, v29, s4
	v_cmp_ne_u32_e64 s4, 15, v23
	v_and_b32_e32 v22, 0x100, v10
	v_lshlrev_b16 v29, 8, v29
	v_cndmask_b32_e64 v37, 7, v37, s4
	v_cmp_ne_u32_e64 s4, 12, v23
	v_lshlrev_b16 v37, 8, v37
	v_cndmask_b32_e64 v39, 7, v18, s4
	v_cmp_ne_u32_e64 s4, 14, v23
	v_or_b32_sdwa v29, v39, v29 dst_sel:DWORD dst_unused:UNUSED_PAD src0_sel:BYTE_0 src1_sel:DWORD
	v_cndmask_b32_e64 v40, 7, v40, s4
	v_cmp_ne_u32_e64 s4, 17, v23
	v_or_b32_sdwa v37, v40, v37 dst_sel:WORD_1 dst_unused:UNUSED_PAD src0_sel:BYTE_0 src1_sel:DWORD
	v_cndmask_b32_e64 v41, 7, v41, s4
	v_cmp_ne_u32_e64 s4, 19, v23
	v_or_b32_sdwa v27, v29, v37 dst_sel:DWORD dst_unused:UNUSED_PAD src0_sel:WORD_0 src1_sel:DWORD
	v_lshlrev_b16 v41, 8, v41
	v_cndmask_b32_e64 v42, 7, v42, s4
	v_cmp_ne_u32_e64 s4, 16, v23
	v_bfe_u32 v29, v10, 7, 1
	v_cndmask_b32_e32 v18, v27, v18, vcc_lo
	v_lshrrev_b32_e32 v27, 24, v17
	v_lshlrev_b16 v42, 8, v42
	v_cndmask_b32_e64 v44, 7, v21, s4
	v_cmp_ne_u32_e64 s4, 18, v23
	v_lshrrev_b32_e32 v37, 16, v19
	v_lshrrev_b32_e32 v40, 16, v18
	v_or_b32_sdwa v39, v44, v41 dst_sel:DWORD dst_unused:UNUSED_PAD src0_sel:BYTE_0 src1_sel:DWORD
	v_cndmask_b32_e64 v43, 7, v43, s4
	v_cmp_ne_u32_e64 s4, 10, v23
	v_add_nc_u32_e32 v23, v23, v29
	v_lshrrev_b32_e32 v29, 16, v17
	v_or_b32_sdwa v41, v43, v42 dst_sel:WORD_1 dst_unused:UNUSED_PAD src0_sel:BYTE_0 src1_sel:DWORD
	v_cndmask_b32_e64 v38, 7, v38, s4
	v_cmp_ne_u32_e64 s4, 5, v23
	v_or_b32_sdwa v25, v39, v41 dst_sel:DWORD dst_unused:UNUSED_PAD src0_sel:WORD_0 src1_sel:DWORD
	v_or_b32_sdwa v36, v38, v36 dst_sel:WORD_1 dst_unused:UNUSED_PAD src0_sel:BYTE_0 src1_sel:DWORD
	v_cndmask_b32_e32 v21, v25, v21, vcc_lo
	v_or_b32_sdwa v28, v28, v36 dst_sel:DWORD dst_unused:UNUSED_PAD src0_sel:WORD_0 src1_sel:DWORD
	v_lshrrev_b32_e32 v41, 8, v21
	v_cndmask_b32_e32 v16, v28, v16, vcc_lo
	v_cmp_ne_u32_e32 vcc_lo, 0, v23
	v_lshrrev_b32_e32 v28, 24, v19
	v_lshrrev_b32_e32 v42, 24, v21
	;; [unrolled: 1-line block ×3, first 2 shown]
	v_cndmask_b32_e32 v25, 8, v19, vcc_lo
	v_cmp_ne_u32_e32 vcc_lo, 1, v23
	v_cndmask_b32_e32 v24, 8, v24, vcc_lo
	v_cmp_ne_u32_e32 vcc_lo, 21, v23
	v_lshlrev_b16 v24, 8, v24
	v_cndmask_b32_e32 v26, 8, v26, vcc_lo
	v_cmp_ne_u32_e32 vcc_lo, 23, v23
	v_or_b32_sdwa v24, v25, v24 dst_sel:DWORD dst_unused:UNUSED_PAD src0_sel:BYTE_0 src1_sel:DWORD
	v_lshlrev_b16 v26, 8, v26
	v_cndmask_b32_e32 v27, 8, v27, vcc_lo
	v_cmp_ne_u32_e32 vcc_lo, 20, v23
	v_lshrrev_b32_e32 v25, 24, v20
	v_lshlrev_b16 v27, 8, v27
	v_cndmask_b32_e32 v36, 8, v17, vcc_lo
	v_cmp_ne_u32_e32 vcc_lo, 22, v23
	v_or_b32_sdwa v26, v36, v26 dst_sel:DWORD dst_unused:UNUSED_PAD src0_sel:BYTE_0 src1_sel:DWORD
	v_cndmask_b32_e32 v29, 8, v29, vcc_lo
	v_cmp_ne_u32_e32 vcc_lo, 3, v23
	v_lshrrev_b32_e32 v36, 16, v20
	v_or_b32_sdwa v27, v29, v27 dst_sel:WORD_1 dst_unused:UNUSED_PAD src0_sel:BYTE_0 src1_sel:DWORD
	v_cndmask_b32_e32 v28, 8, v28, vcc_lo
	v_cmp_ne_u32_e32 vcc_lo, 2, v23
	v_or_b32_sdwa v26, v26, v27 dst_sel:DWORD dst_unused:UNUSED_PAD src0_sel:WORD_0 src1_sel:DWORD
	v_lshlrev_b16 v28, 8, v28
	v_cndmask_b32_e32 v29, 8, v37, vcc_lo
	v_cmp_eq_u32_e32 vcc_lo, 0, v22
	v_lshrrev_b32_e32 v22, 8, v20
	v_lshrrev_b32_e32 v37, 24, v16
	v_or_b32_sdwa v27, v29, v28 dst_sel:WORD_1 dst_unused:UNUSED_PAD src0_sel:BYTE_0 src1_sel:DWORD
	v_lshrrev_b32_e32 v29, 8, v16
	v_cndmask_b32_e64 v22, 8, v22, s4
	v_cmp_ne_u32_e64 s4, 7, v23
	v_cndmask_b32_e32 v17, v26, v17, vcc_lo
	v_or_b32_sdwa v24, v24, v27 dst_sel:DWORD dst_unused:UNUSED_PAD src0_sel:WORD_0 src1_sel:DWORD
	v_lshlrev_b16 v22, 8, v22
	v_cndmask_b32_e64 v25, 8, v25, s4
	v_cmp_ne_u32_e64 s4, 4, v23
	v_cndmask_b32_e32 v19, v24, v19, vcc_lo
	v_lshrrev_b32_e32 v26, 8, v17
	v_lshlrev_b16 v25, 8, v25
	v_cndmask_b32_e64 v28, 8, v20, s4
	v_cmp_ne_u32_e64 s4, 9, v23
	v_lshrrev_b32_e32 v24, 8, v19
	v_or_b32_sdwa v22, v28, v22 dst_sel:DWORD dst_unused:UNUSED_PAD src0_sel:BYTE_0 src1_sel:DWORD
	v_cndmask_b32_e64 v29, 8, v29, s4
	v_cmp_ne_u32_e64 s4, 6, v23
	v_lshlrev_b16 v29, 8, v29
	v_cndmask_b32_e64 v36, 8, v36, s4
	v_cmp_ne_u32_e64 s4, 8, v23
	v_or_b32_sdwa v25, v36, v25 dst_sel:WORD_1 dst_unused:UNUSED_PAD src0_sel:BYTE_0 src1_sel:DWORD
	v_cndmask_b32_e64 v38, 8, v16, s4
	v_cmp_ne_u32_e64 s4, 11, v23
	v_or_b32_sdwa v22, v22, v25 dst_sel:DWORD dst_unused:UNUSED_PAD src0_sel:WORD_0 src1_sel:DWORD
	v_or_b32_sdwa v28, v38, v29 dst_sel:DWORD dst_unused:UNUSED_PAD src0_sel:BYTE_0 src1_sel:DWORD
	v_cndmask_b32_e64 v37, 8, v37, s4
	v_lshrrev_b32_e32 v29, 8, v18
	v_cmp_ne_u32_e64 s4, 13, v23
	v_lshrrev_b32_e32 v38, 16, v16
	v_cndmask_b32_e32 v20, v22, v20, vcc_lo
	v_lshlrev_b16 v36, 8, v37
	v_lshrrev_b32_e32 v37, 24, v18
	v_cndmask_b32_e64 v29, 8, v29, s4
	v_cmp_ne_u32_e64 s4, 15, v23
	v_and_b32_e32 v22, 0x200, v10
	v_lshlrev_b16 v29, 8, v29
	v_cndmask_b32_e64 v37, 8, v37, s4
	v_cmp_ne_u32_e64 s4, 12, v23
	v_lshlrev_b16 v37, 8, v37
	v_cndmask_b32_e64 v39, 8, v18, s4
	v_cmp_ne_u32_e64 s4, 14, v23
	v_or_b32_sdwa v29, v39, v29 dst_sel:DWORD dst_unused:UNUSED_PAD src0_sel:BYTE_0 src1_sel:DWORD
	v_cndmask_b32_e64 v40, 8, v40, s4
	v_cmp_ne_u32_e64 s4, 17, v23
	v_or_b32_sdwa v37, v40, v37 dst_sel:WORD_1 dst_unused:UNUSED_PAD src0_sel:BYTE_0 src1_sel:DWORD
	v_cndmask_b32_e64 v41, 8, v41, s4
	v_cmp_ne_u32_e64 s4, 19, v23
	v_or_b32_sdwa v27, v29, v37 dst_sel:DWORD dst_unused:UNUSED_PAD src0_sel:WORD_0 src1_sel:DWORD
	v_lshlrev_b16 v41, 8, v41
	v_cndmask_b32_e64 v42, 8, v42, s4
	v_cmp_ne_u32_e64 s4, 16, v23
	v_bfe_u32 v29, v10, 8, 1
	v_cndmask_b32_e32 v18, v27, v18, vcc_lo
	v_lshrrev_b32_e32 v27, 24, v17
	v_lshlrev_b16 v42, 8, v42
	v_cndmask_b32_e64 v44, 8, v21, s4
	v_cmp_ne_u32_e64 s4, 18, v23
	v_lshrrev_b32_e32 v37, 16, v19
	v_lshrrev_b32_e32 v40, 16, v18
	v_or_b32_sdwa v39, v44, v41 dst_sel:DWORD dst_unused:UNUSED_PAD src0_sel:BYTE_0 src1_sel:DWORD
	v_cndmask_b32_e64 v43, 8, v43, s4
	v_cmp_ne_u32_e64 s4, 10, v23
	v_add_nc_u32_e32 v23, v23, v29
	v_lshrrev_b32_e32 v29, 16, v17
	v_or_b32_sdwa v41, v43, v42 dst_sel:WORD_1 dst_unused:UNUSED_PAD src0_sel:BYTE_0 src1_sel:DWORD
	v_cndmask_b32_e64 v38, 8, v38, s4
	v_cmp_ne_u32_e64 s4, 5, v23
	v_or_b32_sdwa v25, v39, v41 dst_sel:DWORD dst_unused:UNUSED_PAD src0_sel:WORD_0 src1_sel:DWORD
	v_or_b32_sdwa v36, v38, v36 dst_sel:WORD_1 dst_unused:UNUSED_PAD src0_sel:BYTE_0 src1_sel:DWORD
	v_cndmask_b32_e32 v21, v25, v21, vcc_lo
	v_or_b32_sdwa v28, v28, v36 dst_sel:DWORD dst_unused:UNUSED_PAD src0_sel:WORD_0 src1_sel:DWORD
	v_lshrrev_b32_e32 v41, 8, v21
	v_cndmask_b32_e32 v16, v28, v16, vcc_lo
	v_cmp_ne_u32_e32 vcc_lo, 0, v23
	v_lshrrev_b32_e32 v28, 24, v19
	v_lshrrev_b32_e32 v42, 24, v21
	;; [unrolled: 1-line block ×3, first 2 shown]
	v_cndmask_b32_e32 v25, 9, v19, vcc_lo
	v_cmp_ne_u32_e32 vcc_lo, 1, v23
	v_cndmask_b32_e32 v24, 9, v24, vcc_lo
	v_cmp_ne_u32_e32 vcc_lo, 21, v23
	v_lshlrev_b16 v24, 8, v24
	v_cndmask_b32_e32 v26, 9, v26, vcc_lo
	v_cmp_ne_u32_e32 vcc_lo, 23, v23
	v_or_b32_sdwa v24, v25, v24 dst_sel:DWORD dst_unused:UNUSED_PAD src0_sel:BYTE_0 src1_sel:DWORD
	v_lshlrev_b16 v26, 8, v26
	v_cndmask_b32_e32 v27, 9, v27, vcc_lo
	v_cmp_ne_u32_e32 vcc_lo, 20, v23
	v_lshrrev_b32_e32 v25, 24, v20
	v_lshlrev_b16 v27, 8, v27
	v_cndmask_b32_e32 v36, 9, v17, vcc_lo
	v_cmp_ne_u32_e32 vcc_lo, 22, v23
	v_or_b32_sdwa v26, v36, v26 dst_sel:DWORD dst_unused:UNUSED_PAD src0_sel:BYTE_0 src1_sel:DWORD
	v_cndmask_b32_e32 v29, 9, v29, vcc_lo
	v_cmp_ne_u32_e32 vcc_lo, 3, v23
	v_lshrrev_b32_e32 v36, 16, v20
	v_or_b32_sdwa v27, v29, v27 dst_sel:WORD_1 dst_unused:UNUSED_PAD src0_sel:BYTE_0 src1_sel:DWORD
	v_cndmask_b32_e32 v28, 9, v28, vcc_lo
	v_cmp_ne_u32_e32 vcc_lo, 2, v23
	v_or_b32_sdwa v26, v26, v27 dst_sel:DWORD dst_unused:UNUSED_PAD src0_sel:WORD_0 src1_sel:DWORD
	v_lshlrev_b16 v28, 8, v28
	v_cndmask_b32_e32 v29, 9, v37, vcc_lo
	v_cmp_eq_u32_e32 vcc_lo, 0, v22
	v_lshrrev_b32_e32 v22, 8, v20
	v_lshrrev_b32_e32 v37, 24, v16
	v_or_b32_sdwa v27, v29, v28 dst_sel:WORD_1 dst_unused:UNUSED_PAD src0_sel:BYTE_0 src1_sel:DWORD
	v_lshrrev_b32_e32 v29, 8, v16
	v_cndmask_b32_e64 v22, 9, v22, s4
	v_cmp_ne_u32_e64 s4, 7, v23
	v_cndmask_b32_e32 v17, v26, v17, vcc_lo
	v_or_b32_sdwa v24, v24, v27 dst_sel:DWORD dst_unused:UNUSED_PAD src0_sel:WORD_0 src1_sel:DWORD
	v_lshlrev_b16 v22, 8, v22
	v_cndmask_b32_e64 v25, 9, v25, s4
	v_cmp_ne_u32_e64 s4, 4, v23
	v_cndmask_b32_e32 v19, v24, v19, vcc_lo
	v_lshrrev_b32_e32 v26, 8, v17
	v_lshlrev_b16 v25, 8, v25
	v_cndmask_b32_e64 v28, 9, v20, s4
	v_cmp_ne_u32_e64 s4, 9, v23
	v_lshrrev_b32_e32 v24, 8, v19
	v_or_b32_sdwa v22, v28, v22 dst_sel:DWORD dst_unused:UNUSED_PAD src0_sel:BYTE_0 src1_sel:DWORD
	v_cndmask_b32_e64 v29, 9, v29, s4
	v_cmp_ne_u32_e64 s4, 6, v23
	v_lshlrev_b16 v29, 8, v29
	v_cndmask_b32_e64 v36, 9, v36, s4
	v_cmp_ne_u32_e64 s4, 8, v23
	v_or_b32_sdwa v25, v36, v25 dst_sel:WORD_1 dst_unused:UNUSED_PAD src0_sel:BYTE_0 src1_sel:DWORD
	v_cndmask_b32_e64 v38, 9, v16, s4
	v_cmp_ne_u32_e64 s4, 11, v23
	v_or_b32_sdwa v22, v22, v25 dst_sel:DWORD dst_unused:UNUSED_PAD src0_sel:WORD_0 src1_sel:DWORD
	v_or_b32_sdwa v28, v38, v29 dst_sel:DWORD dst_unused:UNUSED_PAD src0_sel:BYTE_0 src1_sel:DWORD
	v_cndmask_b32_e64 v37, 9, v37, s4
	v_lshrrev_b32_e32 v29, 8, v18
	v_cmp_ne_u32_e64 s4, 13, v23
	v_lshrrev_b32_e32 v38, 16, v16
	v_cndmask_b32_e32 v20, v22, v20, vcc_lo
	v_lshlrev_b16 v36, 8, v37
	v_lshrrev_b32_e32 v37, 24, v18
	v_cndmask_b32_e64 v29, 9, v29, s4
	v_cmp_ne_u32_e64 s4, 15, v23
	v_and_b32_e32 v22, 0x400, v10
	v_lshlrev_b16 v29, 8, v29
	v_cndmask_b32_e64 v37, 9, v37, s4
	v_cmp_ne_u32_e64 s4, 12, v23
	v_lshlrev_b16 v37, 8, v37
	v_cndmask_b32_e64 v39, 9, v18, s4
	v_cmp_ne_u32_e64 s4, 14, v23
	v_or_b32_sdwa v29, v39, v29 dst_sel:DWORD dst_unused:UNUSED_PAD src0_sel:BYTE_0 src1_sel:DWORD
	v_cndmask_b32_e64 v40, 9, v40, s4
	v_cmp_ne_u32_e64 s4, 17, v23
	v_or_b32_sdwa v37, v40, v37 dst_sel:WORD_1 dst_unused:UNUSED_PAD src0_sel:BYTE_0 src1_sel:DWORD
	v_cndmask_b32_e64 v41, 9, v41, s4
	v_cmp_ne_u32_e64 s4, 19, v23
	v_or_b32_sdwa v27, v29, v37 dst_sel:DWORD dst_unused:UNUSED_PAD src0_sel:WORD_0 src1_sel:DWORD
	v_lshlrev_b16 v41, 8, v41
	v_cndmask_b32_e64 v42, 9, v42, s4
	v_cmp_ne_u32_e64 s4, 16, v23
	v_bfe_u32 v29, v10, 9, 1
	v_cndmask_b32_e32 v18, v27, v18, vcc_lo
	v_lshrrev_b32_e32 v27, 24, v17
	v_lshlrev_b16 v42, 8, v42
	v_cndmask_b32_e64 v44, 9, v21, s4
	v_cmp_ne_u32_e64 s4, 18, v23
	v_lshrrev_b32_e32 v37, 16, v19
	v_lshrrev_b32_e32 v40, 16, v18
	v_or_b32_sdwa v39, v44, v41 dst_sel:DWORD dst_unused:UNUSED_PAD src0_sel:BYTE_0 src1_sel:DWORD
	v_cndmask_b32_e64 v43, 9, v43, s4
	v_cmp_ne_u32_e64 s4, 10, v23
	v_add_nc_u32_e32 v23, v23, v29
	v_lshrrev_b32_e32 v29, 16, v17
	v_or_b32_sdwa v41, v43, v42 dst_sel:WORD_1 dst_unused:UNUSED_PAD src0_sel:BYTE_0 src1_sel:DWORD
	v_cndmask_b32_e64 v38, 9, v38, s4
	v_cmp_ne_u32_e64 s4, 5, v23
	v_or_b32_sdwa v25, v39, v41 dst_sel:DWORD dst_unused:UNUSED_PAD src0_sel:WORD_0 src1_sel:DWORD
	v_or_b32_sdwa v36, v38, v36 dst_sel:WORD_1 dst_unused:UNUSED_PAD src0_sel:BYTE_0 src1_sel:DWORD
	v_cndmask_b32_e32 v21, v25, v21, vcc_lo
	v_or_b32_sdwa v28, v28, v36 dst_sel:DWORD dst_unused:UNUSED_PAD src0_sel:WORD_0 src1_sel:DWORD
	v_lshrrev_b32_e32 v41, 8, v21
	v_cndmask_b32_e32 v16, v28, v16, vcc_lo
	v_cmp_ne_u32_e32 vcc_lo, 0, v23
	v_lshrrev_b32_e32 v28, 24, v19
	v_lshrrev_b32_e32 v42, 24, v21
	;; [unrolled: 1-line block ×3, first 2 shown]
	v_cndmask_b32_e32 v25, 10, v19, vcc_lo
	v_cmp_ne_u32_e32 vcc_lo, 1, v23
	v_cndmask_b32_e32 v24, 10, v24, vcc_lo
	v_cmp_ne_u32_e32 vcc_lo, 21, v23
	v_lshlrev_b16 v24, 8, v24
	v_cndmask_b32_e32 v26, 10, v26, vcc_lo
	v_cmp_ne_u32_e32 vcc_lo, 23, v23
	v_or_b32_sdwa v24, v25, v24 dst_sel:DWORD dst_unused:UNUSED_PAD src0_sel:BYTE_0 src1_sel:DWORD
	v_lshlrev_b16 v26, 8, v26
	v_cndmask_b32_e32 v27, 10, v27, vcc_lo
	v_cmp_ne_u32_e32 vcc_lo, 20, v23
	v_lshrrev_b32_e32 v25, 24, v20
	v_lshlrev_b16 v27, 8, v27
	v_cndmask_b32_e32 v36, 10, v17, vcc_lo
	v_cmp_ne_u32_e32 vcc_lo, 22, v23
	v_or_b32_sdwa v26, v36, v26 dst_sel:DWORD dst_unused:UNUSED_PAD src0_sel:BYTE_0 src1_sel:DWORD
	v_cndmask_b32_e32 v29, 10, v29, vcc_lo
	v_cmp_ne_u32_e32 vcc_lo, 3, v23
	v_lshrrev_b32_e32 v36, 16, v20
	v_or_b32_sdwa v27, v29, v27 dst_sel:WORD_1 dst_unused:UNUSED_PAD src0_sel:BYTE_0 src1_sel:DWORD
	v_cndmask_b32_e32 v28, 10, v28, vcc_lo
	v_cmp_ne_u32_e32 vcc_lo, 2, v23
	v_or_b32_sdwa v26, v26, v27 dst_sel:DWORD dst_unused:UNUSED_PAD src0_sel:WORD_0 src1_sel:DWORD
	v_lshlrev_b16 v28, 8, v28
	v_cndmask_b32_e32 v29, 10, v37, vcc_lo
	v_cmp_eq_u32_e32 vcc_lo, 0, v22
	v_lshrrev_b32_e32 v22, 8, v20
	v_lshrrev_b32_e32 v37, 24, v16
	v_or_b32_sdwa v27, v29, v28 dst_sel:WORD_1 dst_unused:UNUSED_PAD src0_sel:BYTE_0 src1_sel:DWORD
	v_lshrrev_b32_e32 v29, 8, v16
	v_cndmask_b32_e64 v22, 10, v22, s4
	v_cmp_ne_u32_e64 s4, 7, v23
	v_cndmask_b32_e32 v17, v26, v17, vcc_lo
	v_or_b32_sdwa v24, v24, v27 dst_sel:DWORD dst_unused:UNUSED_PAD src0_sel:WORD_0 src1_sel:DWORD
	v_lshlrev_b16 v22, 8, v22
	v_cndmask_b32_e64 v25, 10, v25, s4
	v_cmp_ne_u32_e64 s4, 4, v23
	v_cndmask_b32_e32 v19, v24, v19, vcc_lo
	v_lshrrev_b32_e32 v26, 8, v17
	v_lshlrev_b16 v25, 8, v25
	v_cndmask_b32_e64 v28, 10, v20, s4
	v_cmp_ne_u32_e64 s4, 9, v23
	v_lshrrev_b32_e32 v24, 8, v19
	v_or_b32_sdwa v22, v28, v22 dst_sel:DWORD dst_unused:UNUSED_PAD src0_sel:BYTE_0 src1_sel:DWORD
	v_cndmask_b32_e64 v29, 10, v29, s4
	v_cmp_ne_u32_e64 s4, 6, v23
	v_lshlrev_b16 v29, 8, v29
	v_cndmask_b32_e64 v36, 10, v36, s4
	v_cmp_ne_u32_e64 s4, 8, v23
	v_or_b32_sdwa v25, v36, v25 dst_sel:WORD_1 dst_unused:UNUSED_PAD src0_sel:BYTE_0 src1_sel:DWORD
	v_cndmask_b32_e64 v38, 10, v16, s4
	v_cmp_ne_u32_e64 s4, 11, v23
	v_or_b32_sdwa v22, v22, v25 dst_sel:DWORD dst_unused:UNUSED_PAD src0_sel:WORD_0 src1_sel:DWORD
	v_or_b32_sdwa v28, v38, v29 dst_sel:DWORD dst_unused:UNUSED_PAD src0_sel:BYTE_0 src1_sel:DWORD
	v_cndmask_b32_e64 v37, 10, v37, s4
	v_lshrrev_b32_e32 v29, 8, v18
	v_cmp_ne_u32_e64 s4, 13, v23
	v_lshrrev_b32_e32 v38, 16, v16
	v_cndmask_b32_e32 v20, v22, v20, vcc_lo
	v_lshlrev_b16 v36, 8, v37
	v_lshrrev_b32_e32 v37, 24, v18
	v_cndmask_b32_e64 v29, 10, v29, s4
	v_cmp_ne_u32_e64 s4, 15, v23
	v_and_b32_e32 v22, 0x800, v10
	v_lshlrev_b16 v29, 8, v29
	v_cndmask_b32_e64 v37, 10, v37, s4
	v_cmp_ne_u32_e64 s4, 12, v23
	v_lshlrev_b16 v37, 8, v37
	v_cndmask_b32_e64 v39, 10, v18, s4
	v_cmp_ne_u32_e64 s4, 14, v23
	v_or_b32_sdwa v29, v39, v29 dst_sel:DWORD dst_unused:UNUSED_PAD src0_sel:BYTE_0 src1_sel:DWORD
	v_cndmask_b32_e64 v40, 10, v40, s4
	v_cmp_ne_u32_e64 s4, 17, v23
	v_or_b32_sdwa v37, v40, v37 dst_sel:WORD_1 dst_unused:UNUSED_PAD src0_sel:BYTE_0 src1_sel:DWORD
	v_cndmask_b32_e64 v41, 10, v41, s4
	v_cmp_ne_u32_e64 s4, 19, v23
	v_or_b32_sdwa v27, v29, v37 dst_sel:DWORD dst_unused:UNUSED_PAD src0_sel:WORD_0 src1_sel:DWORD
	v_lshlrev_b16 v41, 8, v41
	v_cndmask_b32_e64 v42, 10, v42, s4
	v_cmp_ne_u32_e64 s4, 16, v23
	v_bfe_u32 v29, v10, 10, 1
	v_cndmask_b32_e32 v18, v27, v18, vcc_lo
	v_lshrrev_b32_e32 v27, 24, v17
	v_lshlrev_b16 v42, 8, v42
	v_cndmask_b32_e64 v44, 10, v21, s4
	v_cmp_ne_u32_e64 s4, 18, v23
	v_lshrrev_b32_e32 v37, 16, v19
	v_lshrrev_b32_e32 v40, 16, v18
	v_or_b32_sdwa v39, v44, v41 dst_sel:DWORD dst_unused:UNUSED_PAD src0_sel:BYTE_0 src1_sel:DWORD
	v_cndmask_b32_e64 v43, 10, v43, s4
	v_cmp_ne_u32_e64 s4, 10, v23
	v_add_nc_u32_e32 v23, v23, v29
	v_lshrrev_b32_e32 v29, 16, v17
	v_or_b32_sdwa v41, v43, v42 dst_sel:WORD_1 dst_unused:UNUSED_PAD src0_sel:BYTE_0 src1_sel:DWORD
	v_cndmask_b32_e64 v38, 10, v38, s4
	v_cmp_ne_u32_e64 s4, 5, v23
	v_or_b32_sdwa v25, v39, v41 dst_sel:DWORD dst_unused:UNUSED_PAD src0_sel:WORD_0 src1_sel:DWORD
	v_or_b32_sdwa v36, v38, v36 dst_sel:WORD_1 dst_unused:UNUSED_PAD src0_sel:BYTE_0 src1_sel:DWORD
	v_cndmask_b32_e32 v21, v25, v21, vcc_lo
	v_or_b32_sdwa v28, v28, v36 dst_sel:DWORD dst_unused:UNUSED_PAD src0_sel:WORD_0 src1_sel:DWORD
	v_lshrrev_b32_e32 v41, 8, v21
	v_cndmask_b32_e32 v16, v28, v16, vcc_lo
	v_cmp_ne_u32_e32 vcc_lo, 0, v23
	v_lshrrev_b32_e32 v28, 24, v19
	v_lshrrev_b32_e32 v42, 24, v21
	;; [unrolled: 1-line block ×3, first 2 shown]
	v_cndmask_b32_e32 v25, 11, v19, vcc_lo
	v_cmp_ne_u32_e32 vcc_lo, 1, v23
	v_cndmask_b32_e32 v24, 11, v24, vcc_lo
	v_cmp_ne_u32_e32 vcc_lo, 21, v23
	v_lshlrev_b16 v24, 8, v24
	v_cndmask_b32_e32 v26, 11, v26, vcc_lo
	v_cmp_ne_u32_e32 vcc_lo, 23, v23
	v_or_b32_sdwa v24, v25, v24 dst_sel:DWORD dst_unused:UNUSED_PAD src0_sel:BYTE_0 src1_sel:DWORD
	v_lshlrev_b16 v26, 8, v26
	v_cndmask_b32_e32 v27, 11, v27, vcc_lo
	v_cmp_ne_u32_e32 vcc_lo, 20, v23
	v_lshrrev_b32_e32 v25, 24, v20
	v_lshlrev_b16 v27, 8, v27
	v_cndmask_b32_e32 v36, 11, v17, vcc_lo
	v_cmp_ne_u32_e32 vcc_lo, 22, v23
	v_or_b32_sdwa v26, v36, v26 dst_sel:DWORD dst_unused:UNUSED_PAD src0_sel:BYTE_0 src1_sel:DWORD
	v_cndmask_b32_e32 v29, 11, v29, vcc_lo
	v_cmp_ne_u32_e32 vcc_lo, 3, v23
	v_lshrrev_b32_e32 v36, 16, v20
	v_or_b32_sdwa v27, v29, v27 dst_sel:WORD_1 dst_unused:UNUSED_PAD src0_sel:BYTE_0 src1_sel:DWORD
	v_cndmask_b32_e32 v28, 11, v28, vcc_lo
	v_cmp_ne_u32_e32 vcc_lo, 2, v23
	v_or_b32_sdwa v26, v26, v27 dst_sel:DWORD dst_unused:UNUSED_PAD src0_sel:WORD_0 src1_sel:DWORD
	v_lshlrev_b16 v28, 8, v28
	v_cndmask_b32_e32 v29, 11, v37, vcc_lo
	v_cmp_eq_u32_e32 vcc_lo, 0, v22
	v_lshrrev_b32_e32 v22, 8, v20
	v_lshrrev_b32_e32 v37, 24, v16
	v_or_b32_sdwa v27, v29, v28 dst_sel:WORD_1 dst_unused:UNUSED_PAD src0_sel:BYTE_0 src1_sel:DWORD
	v_lshrrev_b32_e32 v29, 8, v16
	v_cndmask_b32_e64 v22, 11, v22, s4
	v_cmp_ne_u32_e64 s4, 7, v23
	v_cndmask_b32_e32 v17, v26, v17, vcc_lo
	v_or_b32_sdwa v24, v24, v27 dst_sel:DWORD dst_unused:UNUSED_PAD src0_sel:WORD_0 src1_sel:DWORD
	v_lshlrev_b16 v22, 8, v22
	v_cndmask_b32_e64 v25, 11, v25, s4
	v_cmp_ne_u32_e64 s4, 4, v23
	v_cndmask_b32_e32 v19, v24, v19, vcc_lo
	v_lshrrev_b32_e32 v26, 8, v17
	v_lshlrev_b16 v25, 8, v25
	v_cndmask_b32_e64 v28, 11, v20, s4
	v_cmp_ne_u32_e64 s4, 9, v23
	v_lshrrev_b32_e32 v24, 8, v19
	v_or_b32_sdwa v22, v28, v22 dst_sel:DWORD dst_unused:UNUSED_PAD src0_sel:BYTE_0 src1_sel:DWORD
	v_cndmask_b32_e64 v29, 11, v29, s4
	v_cmp_ne_u32_e64 s4, 6, v23
	v_lshlrev_b16 v29, 8, v29
	v_cndmask_b32_e64 v36, 11, v36, s4
	v_cmp_ne_u32_e64 s4, 8, v23
	v_or_b32_sdwa v25, v36, v25 dst_sel:WORD_1 dst_unused:UNUSED_PAD src0_sel:BYTE_0 src1_sel:DWORD
	v_cndmask_b32_e64 v38, 11, v16, s4
	v_cmp_ne_u32_e64 s4, 11, v23
	v_or_b32_sdwa v22, v22, v25 dst_sel:DWORD dst_unused:UNUSED_PAD src0_sel:WORD_0 src1_sel:DWORD
	v_or_b32_sdwa v28, v38, v29 dst_sel:DWORD dst_unused:UNUSED_PAD src0_sel:BYTE_0 src1_sel:DWORD
	v_cndmask_b32_e64 v37, 11, v37, s4
	v_lshrrev_b32_e32 v29, 8, v18
	v_cmp_ne_u32_e64 s4, 13, v23
	v_lshrrev_b32_e32 v38, 16, v16
	v_cndmask_b32_e32 v20, v22, v20, vcc_lo
	v_lshlrev_b16 v36, 8, v37
	v_lshrrev_b32_e32 v37, 24, v18
	v_cndmask_b32_e64 v29, 11, v29, s4
	v_cmp_ne_u32_e64 s4, 15, v23
	v_and_b32_e32 v22, 0x1000, v10
	v_lshlrev_b16 v29, 8, v29
	v_cndmask_b32_e64 v37, 11, v37, s4
	v_cmp_ne_u32_e64 s4, 12, v23
	v_lshlrev_b16 v37, 8, v37
	v_cndmask_b32_e64 v39, 11, v18, s4
	v_cmp_ne_u32_e64 s4, 14, v23
	v_or_b32_sdwa v29, v39, v29 dst_sel:DWORD dst_unused:UNUSED_PAD src0_sel:BYTE_0 src1_sel:DWORD
	v_cndmask_b32_e64 v40, 11, v40, s4
	v_cmp_ne_u32_e64 s4, 17, v23
	v_or_b32_sdwa v37, v40, v37 dst_sel:WORD_1 dst_unused:UNUSED_PAD src0_sel:BYTE_0 src1_sel:DWORD
	v_cndmask_b32_e64 v41, 11, v41, s4
	v_cmp_ne_u32_e64 s4, 19, v23
	v_or_b32_sdwa v27, v29, v37 dst_sel:DWORD dst_unused:UNUSED_PAD src0_sel:WORD_0 src1_sel:DWORD
	v_lshlrev_b16 v41, 8, v41
	v_cndmask_b32_e64 v42, 11, v42, s4
	v_cmp_ne_u32_e64 s4, 16, v23
	v_bfe_u32 v29, v10, 11, 1
	v_cndmask_b32_e32 v18, v27, v18, vcc_lo
	v_lshrrev_b32_e32 v27, 24, v17
	v_lshlrev_b16 v42, 8, v42
	v_cndmask_b32_e64 v44, 11, v21, s4
	v_cmp_ne_u32_e64 s4, 18, v23
	v_lshrrev_b32_e32 v37, 16, v19
	v_lshrrev_b32_e32 v40, 16, v18
	v_or_b32_sdwa v39, v44, v41 dst_sel:DWORD dst_unused:UNUSED_PAD src0_sel:BYTE_0 src1_sel:DWORD
	v_cndmask_b32_e64 v43, 11, v43, s4
	v_cmp_ne_u32_e64 s4, 10, v23
	v_add_nc_u32_e32 v23, v23, v29
	v_lshrrev_b32_e32 v29, 16, v17
	v_or_b32_sdwa v41, v43, v42 dst_sel:WORD_1 dst_unused:UNUSED_PAD src0_sel:BYTE_0 src1_sel:DWORD
	v_cndmask_b32_e64 v38, 11, v38, s4
	v_cmp_ne_u32_e64 s4, 5, v23
	v_or_b32_sdwa v25, v39, v41 dst_sel:DWORD dst_unused:UNUSED_PAD src0_sel:WORD_0 src1_sel:DWORD
	v_or_b32_sdwa v36, v38, v36 dst_sel:WORD_1 dst_unused:UNUSED_PAD src0_sel:BYTE_0 src1_sel:DWORD
	v_cndmask_b32_e32 v21, v25, v21, vcc_lo
	v_or_b32_sdwa v28, v28, v36 dst_sel:DWORD dst_unused:UNUSED_PAD src0_sel:WORD_0 src1_sel:DWORD
	v_lshrrev_b32_e32 v41, 8, v21
	v_cndmask_b32_e32 v16, v28, v16, vcc_lo
	v_cmp_ne_u32_e32 vcc_lo, 0, v23
	v_lshrrev_b32_e32 v28, 24, v19
	v_lshrrev_b32_e32 v42, 24, v21
	;; [unrolled: 1-line block ×3, first 2 shown]
	v_cndmask_b32_e32 v25, 12, v19, vcc_lo
	v_cmp_ne_u32_e32 vcc_lo, 1, v23
	v_cndmask_b32_e32 v24, 12, v24, vcc_lo
	v_cmp_ne_u32_e32 vcc_lo, 21, v23
	v_lshlrev_b16 v24, 8, v24
	v_cndmask_b32_e32 v26, 12, v26, vcc_lo
	v_cmp_ne_u32_e32 vcc_lo, 23, v23
	v_or_b32_sdwa v24, v25, v24 dst_sel:DWORD dst_unused:UNUSED_PAD src0_sel:BYTE_0 src1_sel:DWORD
	v_lshlrev_b16 v26, 8, v26
	v_cndmask_b32_e32 v27, 12, v27, vcc_lo
	v_cmp_ne_u32_e32 vcc_lo, 20, v23
	v_lshrrev_b32_e32 v25, 24, v20
	v_lshlrev_b16 v27, 8, v27
	v_cndmask_b32_e32 v36, 12, v17, vcc_lo
	v_cmp_ne_u32_e32 vcc_lo, 22, v23
	v_or_b32_sdwa v26, v36, v26 dst_sel:DWORD dst_unused:UNUSED_PAD src0_sel:BYTE_0 src1_sel:DWORD
	v_cndmask_b32_e32 v29, 12, v29, vcc_lo
	v_cmp_ne_u32_e32 vcc_lo, 3, v23
	v_lshrrev_b32_e32 v36, 16, v20
	v_or_b32_sdwa v27, v29, v27 dst_sel:WORD_1 dst_unused:UNUSED_PAD src0_sel:BYTE_0 src1_sel:DWORD
	v_cndmask_b32_e32 v28, 12, v28, vcc_lo
	v_cmp_ne_u32_e32 vcc_lo, 2, v23
	v_or_b32_sdwa v26, v26, v27 dst_sel:DWORD dst_unused:UNUSED_PAD src0_sel:WORD_0 src1_sel:DWORD
	v_lshlrev_b16 v28, 8, v28
	v_cndmask_b32_e32 v29, 12, v37, vcc_lo
	v_cmp_eq_u32_e32 vcc_lo, 0, v22
	v_lshrrev_b32_e32 v22, 8, v20
	v_lshrrev_b32_e32 v37, 24, v16
	v_or_b32_sdwa v27, v29, v28 dst_sel:WORD_1 dst_unused:UNUSED_PAD src0_sel:BYTE_0 src1_sel:DWORD
	v_lshrrev_b32_e32 v29, 8, v16
	v_cndmask_b32_e64 v22, 12, v22, s4
	v_cmp_ne_u32_e64 s4, 7, v23
	v_cndmask_b32_e32 v17, v26, v17, vcc_lo
	v_or_b32_sdwa v24, v24, v27 dst_sel:DWORD dst_unused:UNUSED_PAD src0_sel:WORD_0 src1_sel:DWORD
	v_lshlrev_b16 v22, 8, v22
	v_cndmask_b32_e64 v25, 12, v25, s4
	v_cmp_ne_u32_e64 s4, 4, v23
	v_cndmask_b32_e32 v19, v24, v19, vcc_lo
	v_lshrrev_b32_e32 v26, 8, v17
	v_lshlrev_b16 v25, 8, v25
	v_cndmask_b32_e64 v28, 12, v20, s4
	v_cmp_ne_u32_e64 s4, 9, v23
	v_lshrrev_b32_e32 v24, 8, v19
	v_or_b32_sdwa v22, v28, v22 dst_sel:DWORD dst_unused:UNUSED_PAD src0_sel:BYTE_0 src1_sel:DWORD
	v_cndmask_b32_e64 v29, 12, v29, s4
	v_cmp_ne_u32_e64 s4, 6, v23
	v_lshlrev_b16 v29, 8, v29
	v_cndmask_b32_e64 v36, 12, v36, s4
	v_cmp_ne_u32_e64 s4, 8, v23
	v_or_b32_sdwa v25, v36, v25 dst_sel:WORD_1 dst_unused:UNUSED_PAD src0_sel:BYTE_0 src1_sel:DWORD
	v_cndmask_b32_e64 v38, 12, v16, s4
	v_cmp_ne_u32_e64 s4, 11, v23
	v_or_b32_sdwa v22, v22, v25 dst_sel:DWORD dst_unused:UNUSED_PAD src0_sel:WORD_0 src1_sel:DWORD
	v_or_b32_sdwa v28, v38, v29 dst_sel:DWORD dst_unused:UNUSED_PAD src0_sel:BYTE_0 src1_sel:DWORD
	v_cndmask_b32_e64 v37, 12, v37, s4
	v_lshrrev_b32_e32 v29, 8, v18
	v_cmp_ne_u32_e64 s4, 13, v23
	v_lshrrev_b32_e32 v38, 16, v16
	v_cndmask_b32_e32 v20, v22, v20, vcc_lo
	v_lshlrev_b16 v36, 8, v37
	v_lshrrev_b32_e32 v37, 24, v18
	v_cndmask_b32_e64 v29, 12, v29, s4
	v_cmp_ne_u32_e64 s4, 15, v23
	v_and_b32_e32 v22, 0x2000, v10
	v_lshlrev_b16 v29, 8, v29
	v_cndmask_b32_e64 v37, 12, v37, s4
	v_cmp_ne_u32_e64 s4, 12, v23
	v_lshlrev_b16 v37, 8, v37
	v_cndmask_b32_e64 v39, 12, v18, s4
	v_cmp_ne_u32_e64 s4, 14, v23
	v_or_b32_sdwa v29, v39, v29 dst_sel:DWORD dst_unused:UNUSED_PAD src0_sel:BYTE_0 src1_sel:DWORD
	v_cndmask_b32_e64 v40, 12, v40, s4
	v_cmp_ne_u32_e64 s4, 17, v23
	v_or_b32_sdwa v37, v40, v37 dst_sel:WORD_1 dst_unused:UNUSED_PAD src0_sel:BYTE_0 src1_sel:DWORD
	v_cndmask_b32_e64 v41, 12, v41, s4
	v_cmp_ne_u32_e64 s4, 19, v23
	v_or_b32_sdwa v27, v29, v37 dst_sel:DWORD dst_unused:UNUSED_PAD src0_sel:WORD_0 src1_sel:DWORD
	v_lshlrev_b16 v41, 8, v41
	v_cndmask_b32_e64 v42, 12, v42, s4
	v_cmp_ne_u32_e64 s4, 16, v23
	v_bfe_u32 v29, v10, 12, 1
	v_cndmask_b32_e32 v18, v27, v18, vcc_lo
	v_lshrrev_b32_e32 v27, 24, v17
	v_lshlrev_b16 v42, 8, v42
	v_cndmask_b32_e64 v44, 12, v21, s4
	v_cmp_ne_u32_e64 s4, 18, v23
	v_lshrrev_b32_e32 v37, 16, v19
	v_lshrrev_b32_e32 v40, 16, v18
	v_or_b32_sdwa v39, v44, v41 dst_sel:DWORD dst_unused:UNUSED_PAD src0_sel:BYTE_0 src1_sel:DWORD
	v_cndmask_b32_e64 v43, 12, v43, s4
	v_cmp_ne_u32_e64 s4, 10, v23
	v_add_nc_u32_e32 v23, v23, v29
	v_lshrrev_b32_e32 v29, 16, v17
	v_or_b32_sdwa v41, v43, v42 dst_sel:WORD_1 dst_unused:UNUSED_PAD src0_sel:BYTE_0 src1_sel:DWORD
	v_cndmask_b32_e64 v38, 12, v38, s4
	v_cmp_ne_u32_e64 s4, 5, v23
	v_or_b32_sdwa v25, v39, v41 dst_sel:DWORD dst_unused:UNUSED_PAD src0_sel:WORD_0 src1_sel:DWORD
	v_or_b32_sdwa v36, v38, v36 dst_sel:WORD_1 dst_unused:UNUSED_PAD src0_sel:BYTE_0 src1_sel:DWORD
	v_cndmask_b32_e32 v21, v25, v21, vcc_lo
	v_or_b32_sdwa v28, v28, v36 dst_sel:DWORD dst_unused:UNUSED_PAD src0_sel:WORD_0 src1_sel:DWORD
	v_lshrrev_b32_e32 v41, 8, v21
	v_cndmask_b32_e32 v16, v28, v16, vcc_lo
	v_cmp_ne_u32_e32 vcc_lo, 0, v23
	v_lshrrev_b32_e32 v28, 24, v19
	v_lshrrev_b32_e32 v42, 24, v21
	;; [unrolled: 1-line block ×3, first 2 shown]
	v_cndmask_b32_e32 v25, 13, v19, vcc_lo
	v_cmp_ne_u32_e32 vcc_lo, 1, v23
	v_cndmask_b32_e32 v24, 13, v24, vcc_lo
	v_cmp_ne_u32_e32 vcc_lo, 21, v23
	v_lshlrev_b16 v24, 8, v24
	v_cndmask_b32_e32 v26, 13, v26, vcc_lo
	v_cmp_ne_u32_e32 vcc_lo, 23, v23
	v_or_b32_sdwa v24, v25, v24 dst_sel:DWORD dst_unused:UNUSED_PAD src0_sel:BYTE_0 src1_sel:DWORD
	v_lshlrev_b16 v26, 8, v26
	v_cndmask_b32_e32 v27, 13, v27, vcc_lo
	v_cmp_ne_u32_e32 vcc_lo, 20, v23
	v_lshrrev_b32_e32 v25, 24, v20
	v_lshlrev_b16 v27, 8, v27
	v_cndmask_b32_e32 v36, 13, v17, vcc_lo
	v_cmp_ne_u32_e32 vcc_lo, 22, v23
	v_or_b32_sdwa v26, v36, v26 dst_sel:DWORD dst_unused:UNUSED_PAD src0_sel:BYTE_0 src1_sel:DWORD
	v_cndmask_b32_e32 v29, 13, v29, vcc_lo
	v_cmp_ne_u32_e32 vcc_lo, 3, v23
	v_lshrrev_b32_e32 v36, 16, v20
	v_or_b32_sdwa v27, v29, v27 dst_sel:WORD_1 dst_unused:UNUSED_PAD src0_sel:BYTE_0 src1_sel:DWORD
	v_cndmask_b32_e32 v28, 13, v28, vcc_lo
	v_cmp_ne_u32_e32 vcc_lo, 2, v23
	v_or_b32_sdwa v26, v26, v27 dst_sel:DWORD dst_unused:UNUSED_PAD src0_sel:WORD_0 src1_sel:DWORD
	v_lshlrev_b16 v28, 8, v28
	v_cndmask_b32_e32 v29, 13, v37, vcc_lo
	v_cmp_eq_u32_e32 vcc_lo, 0, v22
	v_lshrrev_b32_e32 v22, 8, v20
	v_lshrrev_b32_e32 v37, 24, v16
	v_or_b32_sdwa v27, v29, v28 dst_sel:WORD_1 dst_unused:UNUSED_PAD src0_sel:BYTE_0 src1_sel:DWORD
	v_lshrrev_b32_e32 v29, 8, v16
	v_cndmask_b32_e64 v22, 13, v22, s4
	v_cmp_ne_u32_e64 s4, 7, v23
	v_cndmask_b32_e32 v17, v26, v17, vcc_lo
	v_or_b32_sdwa v24, v24, v27 dst_sel:DWORD dst_unused:UNUSED_PAD src0_sel:WORD_0 src1_sel:DWORD
	v_lshlrev_b16 v22, 8, v22
	v_cndmask_b32_e64 v25, 13, v25, s4
	v_cmp_ne_u32_e64 s4, 4, v23
	v_cndmask_b32_e32 v19, v24, v19, vcc_lo
	v_lshrrev_b32_e32 v26, 8, v17
	v_lshlrev_b16 v25, 8, v25
	v_cndmask_b32_e64 v28, 13, v20, s4
	v_cmp_ne_u32_e64 s4, 9, v23
	v_lshrrev_b32_e32 v24, 8, v19
	v_or_b32_sdwa v22, v28, v22 dst_sel:DWORD dst_unused:UNUSED_PAD src0_sel:BYTE_0 src1_sel:DWORD
	v_cndmask_b32_e64 v29, 13, v29, s4
	v_cmp_ne_u32_e64 s4, 6, v23
	v_lshlrev_b16 v29, 8, v29
	v_cndmask_b32_e64 v36, 13, v36, s4
	v_cmp_ne_u32_e64 s4, 8, v23
	v_or_b32_sdwa v25, v36, v25 dst_sel:WORD_1 dst_unused:UNUSED_PAD src0_sel:BYTE_0 src1_sel:DWORD
	v_cndmask_b32_e64 v38, 13, v16, s4
	v_cmp_ne_u32_e64 s4, 11, v23
	v_or_b32_sdwa v22, v22, v25 dst_sel:DWORD dst_unused:UNUSED_PAD src0_sel:WORD_0 src1_sel:DWORD
	v_or_b32_sdwa v28, v38, v29 dst_sel:DWORD dst_unused:UNUSED_PAD src0_sel:BYTE_0 src1_sel:DWORD
	v_cndmask_b32_e64 v37, 13, v37, s4
	v_lshrrev_b32_e32 v29, 8, v18
	v_cmp_ne_u32_e64 s4, 13, v23
	v_lshrrev_b32_e32 v38, 16, v16
	v_cndmask_b32_e32 v20, v22, v20, vcc_lo
	v_lshlrev_b16 v36, 8, v37
	v_lshrrev_b32_e32 v37, 24, v18
	v_cndmask_b32_e64 v29, 13, v29, s4
	v_cmp_ne_u32_e64 s4, 15, v23
	v_and_b32_e32 v22, 0x4000, v10
	v_lshlrev_b16 v29, 8, v29
	v_cndmask_b32_e64 v37, 13, v37, s4
	v_cmp_ne_u32_e64 s4, 12, v23
	v_lshlrev_b16 v37, 8, v37
	v_cndmask_b32_e64 v39, 13, v18, s4
	v_cmp_ne_u32_e64 s4, 14, v23
	v_or_b32_sdwa v29, v39, v29 dst_sel:DWORD dst_unused:UNUSED_PAD src0_sel:BYTE_0 src1_sel:DWORD
	v_cndmask_b32_e64 v40, 13, v40, s4
	v_cmp_ne_u32_e64 s4, 17, v23
	v_or_b32_sdwa v37, v40, v37 dst_sel:WORD_1 dst_unused:UNUSED_PAD src0_sel:BYTE_0 src1_sel:DWORD
	v_cndmask_b32_e64 v41, 13, v41, s4
	v_cmp_ne_u32_e64 s4, 19, v23
	v_or_b32_sdwa v27, v29, v37 dst_sel:DWORD dst_unused:UNUSED_PAD src0_sel:WORD_0 src1_sel:DWORD
	v_lshlrev_b16 v41, 8, v41
	v_cndmask_b32_e64 v42, 13, v42, s4
	v_cmp_ne_u32_e64 s4, 16, v23
	v_bfe_u32 v29, v10, 13, 1
	v_cndmask_b32_e32 v18, v27, v18, vcc_lo
	v_lshrrev_b32_e32 v27, 24, v17
	v_lshlrev_b16 v42, 8, v42
	v_cndmask_b32_e64 v44, 13, v21, s4
	v_cmp_ne_u32_e64 s4, 18, v23
	v_lshrrev_b32_e32 v37, 16, v19
	v_lshrrev_b32_e32 v40, 16, v18
	v_or_b32_sdwa v39, v44, v41 dst_sel:DWORD dst_unused:UNUSED_PAD src0_sel:BYTE_0 src1_sel:DWORD
	v_cndmask_b32_e64 v43, 13, v43, s4
	v_cmp_ne_u32_e64 s4, 10, v23
	v_add_nc_u32_e32 v23, v23, v29
	v_lshrrev_b32_e32 v29, 16, v17
	v_or_b32_sdwa v41, v43, v42 dst_sel:WORD_1 dst_unused:UNUSED_PAD src0_sel:BYTE_0 src1_sel:DWORD
	v_cndmask_b32_e64 v38, 13, v38, s4
	v_cmp_ne_u32_e64 s4, 5, v23
	v_or_b32_sdwa v25, v39, v41 dst_sel:DWORD dst_unused:UNUSED_PAD src0_sel:WORD_0 src1_sel:DWORD
	v_or_b32_sdwa v36, v38, v36 dst_sel:WORD_1 dst_unused:UNUSED_PAD src0_sel:BYTE_0 src1_sel:DWORD
	v_cndmask_b32_e32 v21, v25, v21, vcc_lo
	v_or_b32_sdwa v28, v28, v36 dst_sel:DWORD dst_unused:UNUSED_PAD src0_sel:WORD_0 src1_sel:DWORD
	v_lshrrev_b32_e32 v41, 8, v21
	v_cndmask_b32_e32 v16, v28, v16, vcc_lo
	v_cmp_ne_u32_e32 vcc_lo, 0, v23
	v_lshrrev_b32_e32 v28, 24, v19
	v_lshrrev_b32_e32 v42, 24, v21
	v_lshrrev_b32_e32 v43, 16, v21
	v_cndmask_b32_e32 v25, 14, v19, vcc_lo
	v_cmp_ne_u32_e32 vcc_lo, 1, v23
	v_cndmask_b32_e32 v24, 14, v24, vcc_lo
	v_cmp_ne_u32_e32 vcc_lo, 21, v23
	v_lshlrev_b16 v24, 8, v24
	v_cndmask_b32_e32 v26, 14, v26, vcc_lo
	v_cmp_ne_u32_e32 vcc_lo, 23, v23
	v_or_b32_sdwa v24, v25, v24 dst_sel:DWORD dst_unused:UNUSED_PAD src0_sel:BYTE_0 src1_sel:DWORD
	v_lshlrev_b16 v26, 8, v26
	v_cndmask_b32_e32 v27, 14, v27, vcc_lo
	v_cmp_ne_u32_e32 vcc_lo, 20, v23
	v_lshrrev_b32_e32 v25, 24, v20
	v_lshlrev_b16 v27, 8, v27
	v_cndmask_b32_e32 v36, 14, v17, vcc_lo
	v_cmp_ne_u32_e32 vcc_lo, 22, v23
	v_or_b32_sdwa v26, v36, v26 dst_sel:DWORD dst_unused:UNUSED_PAD src0_sel:BYTE_0 src1_sel:DWORD
	v_cndmask_b32_e32 v29, 14, v29, vcc_lo
	v_cmp_ne_u32_e32 vcc_lo, 3, v23
	v_lshrrev_b32_e32 v36, 16, v20
	v_or_b32_sdwa v27, v29, v27 dst_sel:WORD_1 dst_unused:UNUSED_PAD src0_sel:BYTE_0 src1_sel:DWORD
	v_cndmask_b32_e32 v28, 14, v28, vcc_lo
	v_cmp_ne_u32_e32 vcc_lo, 2, v23
	v_or_b32_sdwa v26, v26, v27 dst_sel:DWORD dst_unused:UNUSED_PAD src0_sel:WORD_0 src1_sel:DWORD
	v_lshlrev_b16 v28, 8, v28
	v_cndmask_b32_e32 v29, 14, v37, vcc_lo
	v_cmp_eq_u32_e32 vcc_lo, 0, v22
	v_lshrrev_b32_e32 v22, 8, v20
	v_lshrrev_b32_e32 v37, 24, v16
	v_or_b32_sdwa v27, v29, v28 dst_sel:WORD_1 dst_unused:UNUSED_PAD src0_sel:BYTE_0 src1_sel:DWORD
	v_lshrrev_b32_e32 v29, 8, v16
	v_cndmask_b32_e64 v22, 14, v22, s4
	v_cmp_ne_u32_e64 s4, 7, v23
	v_cndmask_b32_e32 v17, v26, v17, vcc_lo
	v_or_b32_sdwa v24, v24, v27 dst_sel:DWORD dst_unused:UNUSED_PAD src0_sel:WORD_0 src1_sel:DWORD
	v_lshlrev_b16 v22, 8, v22
	v_cndmask_b32_e64 v25, 14, v25, s4
	v_cmp_ne_u32_e64 s4, 4, v23
	v_cndmask_b32_e32 v19, v24, v19, vcc_lo
	v_lshrrev_b32_e32 v26, 8, v17
	v_lshlrev_b16 v25, 8, v25
	v_cndmask_b32_e64 v28, 14, v20, s4
	v_cmp_ne_u32_e64 s4, 9, v23
	v_lshrrev_b32_e32 v24, 8, v19
	v_or_b32_sdwa v22, v28, v22 dst_sel:DWORD dst_unused:UNUSED_PAD src0_sel:BYTE_0 src1_sel:DWORD
	v_cndmask_b32_e64 v29, 14, v29, s4
	v_cmp_ne_u32_e64 s4, 6, v23
	v_lshlrev_b16 v29, 8, v29
	v_cndmask_b32_e64 v36, 14, v36, s4
	v_cmp_ne_u32_e64 s4, 8, v23
	v_or_b32_sdwa v25, v36, v25 dst_sel:WORD_1 dst_unused:UNUSED_PAD src0_sel:BYTE_0 src1_sel:DWORD
	v_cndmask_b32_e64 v38, 14, v16, s4
	v_cmp_ne_u32_e64 s4, 11, v23
	v_or_b32_sdwa v22, v22, v25 dst_sel:DWORD dst_unused:UNUSED_PAD src0_sel:WORD_0 src1_sel:DWORD
	v_or_b32_sdwa v28, v38, v29 dst_sel:DWORD dst_unused:UNUSED_PAD src0_sel:BYTE_0 src1_sel:DWORD
	v_cndmask_b32_e64 v37, 14, v37, s4
	v_lshrrev_b32_e32 v29, 8, v18
	v_cmp_ne_u32_e64 s4, 13, v23
	v_lshrrev_b32_e32 v38, 16, v16
	v_cndmask_b32_e32 v20, v22, v20, vcc_lo
	v_lshlrev_b16 v36, 8, v37
	v_lshrrev_b32_e32 v37, 24, v18
	v_cndmask_b32_e64 v29, 14, v29, s4
	v_cmp_ne_u32_e64 s4, 15, v23
	v_and_b32_e32 v22, 0x8000, v10
	v_lshlrev_b16 v29, 8, v29
	v_cndmask_b32_e64 v37, 14, v37, s4
	v_cmp_ne_u32_e64 s4, 12, v23
	v_lshlrev_b16 v37, 8, v37
	v_cndmask_b32_e64 v39, 14, v18, s4
	v_cmp_ne_u32_e64 s4, 14, v23
	v_or_b32_sdwa v29, v39, v29 dst_sel:DWORD dst_unused:UNUSED_PAD src0_sel:BYTE_0 src1_sel:DWORD
	v_cndmask_b32_e64 v40, 14, v40, s4
	v_cmp_ne_u32_e64 s4, 17, v23
	v_or_b32_sdwa v37, v40, v37 dst_sel:WORD_1 dst_unused:UNUSED_PAD src0_sel:BYTE_0 src1_sel:DWORD
	v_cndmask_b32_e64 v41, 14, v41, s4
	v_cmp_ne_u32_e64 s4, 19, v23
	v_or_b32_sdwa v27, v29, v37 dst_sel:DWORD dst_unused:UNUSED_PAD src0_sel:WORD_0 src1_sel:DWORD
	v_lshlrev_b16 v41, 8, v41
	v_cndmask_b32_e64 v42, 14, v42, s4
	v_cmp_ne_u32_e64 s4, 16, v23
	v_bfe_u32 v29, v10, 14, 1
	v_cndmask_b32_e32 v18, v27, v18, vcc_lo
	v_lshrrev_b32_e32 v27, 24, v17
	v_lshlrev_b16 v42, 8, v42
	v_cndmask_b32_e64 v44, 14, v21, s4
	v_cmp_ne_u32_e64 s4, 18, v23
	v_lshrrev_b32_e32 v37, 16, v19
	v_lshrrev_b32_e32 v40, 16, v18
	v_or_b32_sdwa v39, v44, v41 dst_sel:DWORD dst_unused:UNUSED_PAD src0_sel:BYTE_0 src1_sel:DWORD
	v_cndmask_b32_e64 v43, 14, v43, s4
	v_cmp_ne_u32_e64 s4, 10, v23
	v_add_nc_u32_e32 v23, v23, v29
	v_lshrrev_b32_e32 v29, 16, v17
	v_or_b32_sdwa v41, v43, v42 dst_sel:WORD_1 dst_unused:UNUSED_PAD src0_sel:BYTE_0 src1_sel:DWORD
	v_cndmask_b32_e64 v38, 14, v38, s4
	v_cmp_ne_u32_e64 s4, 5, v23
	v_or_b32_sdwa v25, v39, v41 dst_sel:DWORD dst_unused:UNUSED_PAD src0_sel:WORD_0 src1_sel:DWORD
	v_or_b32_sdwa v36, v38, v36 dst_sel:WORD_1 dst_unused:UNUSED_PAD src0_sel:BYTE_0 src1_sel:DWORD
	v_cndmask_b32_e32 v21, v25, v21, vcc_lo
	v_or_b32_sdwa v28, v28, v36 dst_sel:DWORD dst_unused:UNUSED_PAD src0_sel:WORD_0 src1_sel:DWORD
	v_lshrrev_b32_e32 v41, 8, v21
	v_cndmask_b32_e32 v16, v28, v16, vcc_lo
	v_cmp_ne_u32_e32 vcc_lo, 0, v23
	v_lshrrev_b32_e32 v28, 24, v19
	v_lshrrev_b32_e32 v42, 24, v21
	;; [unrolled: 1-line block ×3, first 2 shown]
	v_cndmask_b32_e32 v25, 15, v19, vcc_lo
	v_cmp_ne_u32_e32 vcc_lo, 1, v23
	v_cndmask_b32_e32 v24, 15, v24, vcc_lo
	v_cmp_ne_u32_e32 vcc_lo, 21, v23
	v_lshlrev_b16 v24, 8, v24
	v_cndmask_b32_e32 v26, 15, v26, vcc_lo
	v_cmp_ne_u32_e32 vcc_lo, 23, v23
	v_or_b32_sdwa v24, v25, v24 dst_sel:DWORD dst_unused:UNUSED_PAD src0_sel:BYTE_0 src1_sel:DWORD
	v_lshlrev_b16 v26, 8, v26
	v_cndmask_b32_e32 v27, 15, v27, vcc_lo
	v_cmp_ne_u32_e32 vcc_lo, 20, v23
	v_lshrrev_b32_e32 v25, 24, v20
	v_lshlrev_b16 v27, 8, v27
	v_cndmask_b32_e32 v36, 15, v17, vcc_lo
	v_cmp_ne_u32_e32 vcc_lo, 22, v23
	v_or_b32_sdwa v26, v36, v26 dst_sel:DWORD dst_unused:UNUSED_PAD src0_sel:BYTE_0 src1_sel:DWORD
	v_cndmask_b32_e32 v29, 15, v29, vcc_lo
	v_cmp_ne_u32_e32 vcc_lo, 3, v23
	v_lshrrev_b32_e32 v36, 16, v20
	v_or_b32_sdwa v27, v29, v27 dst_sel:WORD_1 dst_unused:UNUSED_PAD src0_sel:BYTE_0 src1_sel:DWORD
	v_cndmask_b32_e32 v28, 15, v28, vcc_lo
	v_cmp_ne_u32_e32 vcc_lo, 2, v23
	v_or_b32_sdwa v26, v26, v27 dst_sel:DWORD dst_unused:UNUSED_PAD src0_sel:WORD_0 src1_sel:DWORD
	v_lshlrev_b16 v28, 8, v28
	v_cndmask_b32_e32 v29, 15, v37, vcc_lo
	v_cmp_eq_u32_e32 vcc_lo, 0, v22
	v_lshrrev_b32_e32 v22, 8, v20
	v_lshrrev_b32_e32 v37, 24, v16
	v_or_b32_sdwa v27, v29, v28 dst_sel:WORD_1 dst_unused:UNUSED_PAD src0_sel:BYTE_0 src1_sel:DWORD
	v_lshrrev_b32_e32 v29, 8, v16
	v_cndmask_b32_e64 v22, 15, v22, s4
	v_cmp_ne_u32_e64 s4, 7, v23
	v_cndmask_b32_e32 v17, v26, v17, vcc_lo
	v_or_b32_sdwa v24, v24, v27 dst_sel:DWORD dst_unused:UNUSED_PAD src0_sel:WORD_0 src1_sel:DWORD
	v_lshlrev_b16 v22, 8, v22
	v_cndmask_b32_e64 v25, 15, v25, s4
	v_cmp_ne_u32_e64 s4, 4, v23
	v_cndmask_b32_e32 v19, v24, v19, vcc_lo
	v_lshrrev_b32_e32 v26, 8, v17
	v_lshlrev_b16 v25, 8, v25
	v_cndmask_b32_e64 v28, 15, v20, s4
	v_cmp_ne_u32_e64 s4, 9, v23
	v_lshrrev_b32_e32 v24, 8, v19
	v_or_b32_sdwa v22, v28, v22 dst_sel:DWORD dst_unused:UNUSED_PAD src0_sel:BYTE_0 src1_sel:DWORD
	v_cndmask_b32_e64 v29, 15, v29, s4
	v_cmp_ne_u32_e64 s4, 6, v23
	v_lshlrev_b16 v29, 8, v29
	v_cndmask_b32_e64 v36, 15, v36, s4
	v_cmp_ne_u32_e64 s4, 8, v23
	v_or_b32_sdwa v25, v36, v25 dst_sel:WORD_1 dst_unused:UNUSED_PAD src0_sel:BYTE_0 src1_sel:DWORD
	v_cndmask_b32_e64 v38, 15, v16, s4
	v_cmp_ne_u32_e64 s4, 11, v23
	v_or_b32_sdwa v22, v22, v25 dst_sel:DWORD dst_unused:UNUSED_PAD src0_sel:WORD_0 src1_sel:DWORD
	v_or_b32_sdwa v28, v38, v29 dst_sel:DWORD dst_unused:UNUSED_PAD src0_sel:BYTE_0 src1_sel:DWORD
	v_cndmask_b32_e64 v37, 15, v37, s4
	v_lshrrev_b32_e32 v29, 8, v18
	v_cmp_ne_u32_e64 s4, 13, v23
	v_lshrrev_b32_e32 v38, 16, v16
	v_cndmask_b32_e32 v20, v22, v20, vcc_lo
	v_lshlrev_b16 v36, 8, v37
	v_lshrrev_b32_e32 v37, 24, v18
	v_cndmask_b32_e64 v29, 15, v29, s4
	v_cmp_ne_u32_e64 s4, 15, v23
	v_and_b32_e32 v22, 0x10000, v10
	v_lshlrev_b16 v29, 8, v29
	v_cndmask_b32_e64 v37, 15, v37, s4
	v_cmp_ne_u32_e64 s4, 12, v23
	v_lshlrev_b16 v37, 8, v37
	v_cndmask_b32_e64 v39, 15, v18, s4
	v_cmp_ne_u32_e64 s4, 14, v23
	v_or_b32_sdwa v29, v39, v29 dst_sel:DWORD dst_unused:UNUSED_PAD src0_sel:BYTE_0 src1_sel:DWORD
	v_cndmask_b32_e64 v40, 15, v40, s4
	v_cmp_ne_u32_e64 s4, 17, v23
	v_or_b32_sdwa v37, v40, v37 dst_sel:WORD_1 dst_unused:UNUSED_PAD src0_sel:BYTE_0 src1_sel:DWORD
	v_cndmask_b32_e64 v41, 15, v41, s4
	v_cmp_ne_u32_e64 s4, 19, v23
	v_or_b32_sdwa v27, v29, v37 dst_sel:DWORD dst_unused:UNUSED_PAD src0_sel:WORD_0 src1_sel:DWORD
	v_lshlrev_b16 v41, 8, v41
	v_cndmask_b32_e64 v42, 15, v42, s4
	v_cmp_ne_u32_e64 s4, 16, v23
	v_bfe_u32 v29, v10, 15, 1
	v_cndmask_b32_e32 v18, v27, v18, vcc_lo
	v_lshrrev_b32_e32 v27, 24, v17
	v_lshlrev_b16 v42, 8, v42
	v_cndmask_b32_e64 v44, 15, v21, s4
	v_cmp_ne_u32_e64 s4, 18, v23
	v_lshrrev_b32_e32 v37, 16, v19
	v_lshrrev_b32_e32 v40, 16, v18
	v_or_b32_sdwa v39, v44, v41 dst_sel:DWORD dst_unused:UNUSED_PAD src0_sel:BYTE_0 src1_sel:DWORD
	v_cndmask_b32_e64 v43, 15, v43, s4
	v_cmp_ne_u32_e64 s4, 10, v23
	v_add_nc_u32_e32 v23, v23, v29
	v_lshrrev_b32_e32 v29, 16, v17
	v_or_b32_sdwa v41, v43, v42 dst_sel:WORD_1 dst_unused:UNUSED_PAD src0_sel:BYTE_0 src1_sel:DWORD
	v_cndmask_b32_e64 v38, 15, v38, s4
	v_cmp_ne_u32_e64 s4, 5, v23
	v_or_b32_sdwa v25, v39, v41 dst_sel:DWORD dst_unused:UNUSED_PAD src0_sel:WORD_0 src1_sel:DWORD
	v_or_b32_sdwa v36, v38, v36 dst_sel:WORD_1 dst_unused:UNUSED_PAD src0_sel:BYTE_0 src1_sel:DWORD
	v_cndmask_b32_e32 v21, v25, v21, vcc_lo
	v_or_b32_sdwa v28, v28, v36 dst_sel:DWORD dst_unused:UNUSED_PAD src0_sel:WORD_0 src1_sel:DWORD
	v_lshrrev_b32_e32 v41, 8, v21
	v_cndmask_b32_e32 v16, v28, v16, vcc_lo
	v_cmp_ne_u32_e32 vcc_lo, 0, v23
	v_lshrrev_b32_e32 v28, 24, v19
	v_lshrrev_b32_e32 v42, 24, v21
	;; [unrolled: 1-line block ×3, first 2 shown]
	v_cndmask_b32_e32 v25, 16, v19, vcc_lo
	v_cmp_ne_u32_e32 vcc_lo, 1, v23
	v_cndmask_b32_e32 v24, 16, v24, vcc_lo
	v_cmp_ne_u32_e32 vcc_lo, 21, v23
	v_lshlrev_b16 v24, 8, v24
	v_cndmask_b32_e32 v26, 16, v26, vcc_lo
	v_cmp_ne_u32_e32 vcc_lo, 23, v23
	v_or_b32_sdwa v24, v25, v24 dst_sel:DWORD dst_unused:UNUSED_PAD src0_sel:BYTE_0 src1_sel:DWORD
	v_lshlrev_b16 v26, 8, v26
	v_cndmask_b32_e32 v27, 16, v27, vcc_lo
	v_cmp_ne_u32_e32 vcc_lo, 20, v23
	v_lshrrev_b32_e32 v25, 24, v20
	v_lshlrev_b16 v27, 8, v27
	v_cndmask_b32_e32 v36, 16, v17, vcc_lo
	v_cmp_ne_u32_e32 vcc_lo, 22, v23
	v_or_b32_sdwa v26, v36, v26 dst_sel:DWORD dst_unused:UNUSED_PAD src0_sel:BYTE_0 src1_sel:DWORD
	v_cndmask_b32_e32 v29, 16, v29, vcc_lo
	v_cmp_ne_u32_e32 vcc_lo, 3, v23
	v_lshrrev_b32_e32 v36, 16, v20
	v_or_b32_sdwa v27, v29, v27 dst_sel:WORD_1 dst_unused:UNUSED_PAD src0_sel:BYTE_0 src1_sel:DWORD
	v_cndmask_b32_e32 v28, 16, v28, vcc_lo
	v_cmp_ne_u32_e32 vcc_lo, 2, v23
	v_or_b32_sdwa v26, v26, v27 dst_sel:DWORD dst_unused:UNUSED_PAD src0_sel:WORD_0 src1_sel:DWORD
	v_lshlrev_b16 v28, 8, v28
	v_cndmask_b32_e32 v29, 16, v37, vcc_lo
	v_cmp_eq_u32_e32 vcc_lo, 0, v22
	v_lshrrev_b32_e32 v22, 8, v20
	v_lshrrev_b32_e32 v37, 24, v16
	v_or_b32_sdwa v27, v29, v28 dst_sel:WORD_1 dst_unused:UNUSED_PAD src0_sel:BYTE_0 src1_sel:DWORD
	v_lshrrev_b32_e32 v29, 8, v16
	v_cndmask_b32_e64 v22, 16, v22, s4
	v_cmp_ne_u32_e64 s4, 7, v23
	v_cndmask_b32_e32 v17, v26, v17, vcc_lo
	v_or_b32_sdwa v24, v24, v27 dst_sel:DWORD dst_unused:UNUSED_PAD src0_sel:WORD_0 src1_sel:DWORD
	v_lshlrev_b16 v22, 8, v22
	v_cndmask_b32_e64 v25, 16, v25, s4
	v_cmp_ne_u32_e64 s4, 4, v23
	v_cndmask_b32_e32 v19, v24, v19, vcc_lo
	v_lshrrev_b32_e32 v26, 8, v17
	v_lshlrev_b16 v25, 8, v25
	v_cndmask_b32_e64 v28, 16, v20, s4
	v_cmp_ne_u32_e64 s4, 9, v23
	v_lshrrev_b32_e32 v24, 8, v19
	v_or_b32_sdwa v22, v28, v22 dst_sel:DWORD dst_unused:UNUSED_PAD src0_sel:BYTE_0 src1_sel:DWORD
	v_cndmask_b32_e64 v29, 16, v29, s4
	v_cmp_ne_u32_e64 s4, 6, v23
	v_lshlrev_b16 v29, 8, v29
	v_cndmask_b32_e64 v36, 16, v36, s4
	v_cmp_ne_u32_e64 s4, 8, v23
	v_or_b32_sdwa v25, v36, v25 dst_sel:WORD_1 dst_unused:UNUSED_PAD src0_sel:BYTE_0 src1_sel:DWORD
	v_cndmask_b32_e64 v38, 16, v16, s4
	v_cmp_ne_u32_e64 s4, 11, v23
	v_or_b32_sdwa v22, v22, v25 dst_sel:DWORD dst_unused:UNUSED_PAD src0_sel:WORD_0 src1_sel:DWORD
	v_or_b32_sdwa v28, v38, v29 dst_sel:DWORD dst_unused:UNUSED_PAD src0_sel:BYTE_0 src1_sel:DWORD
	v_cndmask_b32_e64 v37, 16, v37, s4
	v_lshrrev_b32_e32 v29, 8, v18
	v_cmp_ne_u32_e64 s4, 13, v23
	v_lshrrev_b32_e32 v38, 16, v16
	v_cndmask_b32_e32 v20, v22, v20, vcc_lo
	v_lshlrev_b16 v36, 8, v37
	v_lshrrev_b32_e32 v37, 24, v18
	v_cndmask_b32_e64 v29, 16, v29, s4
	v_cmp_ne_u32_e64 s4, 15, v23
	v_and_b32_e32 v22, 0x20000, v10
	v_lshlrev_b16 v29, 8, v29
	v_cndmask_b32_e64 v37, 16, v37, s4
	v_cmp_ne_u32_e64 s4, 12, v23
	v_lshlrev_b16 v37, 8, v37
	v_cndmask_b32_e64 v39, 16, v18, s4
	v_cmp_ne_u32_e64 s4, 14, v23
	v_or_b32_sdwa v29, v39, v29 dst_sel:DWORD dst_unused:UNUSED_PAD src0_sel:BYTE_0 src1_sel:DWORD
	v_cndmask_b32_e64 v40, 16, v40, s4
	v_cmp_ne_u32_e64 s4, 17, v23
	v_or_b32_sdwa v37, v40, v37 dst_sel:WORD_1 dst_unused:UNUSED_PAD src0_sel:BYTE_0 src1_sel:DWORD
	v_cndmask_b32_e64 v41, 16, v41, s4
	v_cmp_ne_u32_e64 s4, 19, v23
	v_or_b32_sdwa v27, v29, v37 dst_sel:DWORD dst_unused:UNUSED_PAD src0_sel:WORD_0 src1_sel:DWORD
	v_lshlrev_b16 v41, 8, v41
	v_cndmask_b32_e64 v42, 16, v42, s4
	v_cmp_ne_u32_e64 s4, 16, v23
	v_bfe_u32 v29, v10, 16, 1
	v_cndmask_b32_e32 v18, v27, v18, vcc_lo
	v_lshrrev_b32_e32 v27, 24, v17
	v_lshlrev_b16 v42, 8, v42
	v_cndmask_b32_e64 v44, 16, v21, s4
	v_cmp_ne_u32_e64 s4, 18, v23
	v_lshrrev_b32_e32 v37, 16, v19
	v_lshrrev_b32_e32 v40, 16, v18
	v_or_b32_sdwa v39, v44, v41 dst_sel:DWORD dst_unused:UNUSED_PAD src0_sel:BYTE_0 src1_sel:DWORD
	v_cndmask_b32_e64 v43, 16, v43, s4
	v_cmp_ne_u32_e64 s4, 10, v23
	v_add_nc_u32_e32 v23, v23, v29
	v_lshrrev_b32_e32 v29, 16, v17
	v_or_b32_sdwa v41, v43, v42 dst_sel:WORD_1 dst_unused:UNUSED_PAD src0_sel:BYTE_0 src1_sel:DWORD
	v_cndmask_b32_e64 v38, 16, v38, s4
	v_cmp_ne_u32_e64 s4, 5, v23
	v_or_b32_sdwa v25, v39, v41 dst_sel:DWORD dst_unused:UNUSED_PAD src0_sel:WORD_0 src1_sel:DWORD
	v_or_b32_sdwa v36, v38, v36 dst_sel:WORD_1 dst_unused:UNUSED_PAD src0_sel:BYTE_0 src1_sel:DWORD
	v_cndmask_b32_e32 v21, v25, v21, vcc_lo
	v_or_b32_sdwa v28, v28, v36 dst_sel:DWORD dst_unused:UNUSED_PAD src0_sel:WORD_0 src1_sel:DWORD
	v_lshrrev_b32_e32 v41, 8, v21
	v_cndmask_b32_e32 v16, v28, v16, vcc_lo
	v_cmp_ne_u32_e32 vcc_lo, 0, v23
	v_lshrrev_b32_e32 v28, 24, v19
	v_lshrrev_b32_e32 v42, 24, v21
	;; [unrolled: 1-line block ×3, first 2 shown]
	v_cndmask_b32_e32 v25, 17, v19, vcc_lo
	v_cmp_ne_u32_e32 vcc_lo, 1, v23
	v_cndmask_b32_e32 v24, 17, v24, vcc_lo
	v_cmp_ne_u32_e32 vcc_lo, 21, v23
	v_lshlrev_b16 v24, 8, v24
	v_cndmask_b32_e32 v26, 17, v26, vcc_lo
	v_cmp_ne_u32_e32 vcc_lo, 23, v23
	v_or_b32_sdwa v24, v25, v24 dst_sel:DWORD dst_unused:UNUSED_PAD src0_sel:BYTE_0 src1_sel:DWORD
	v_lshlrev_b16 v26, 8, v26
	v_cndmask_b32_e32 v27, 17, v27, vcc_lo
	v_cmp_ne_u32_e32 vcc_lo, 20, v23
	v_lshrrev_b32_e32 v25, 24, v20
	v_lshlrev_b16 v27, 8, v27
	v_cndmask_b32_e32 v36, 17, v17, vcc_lo
	v_cmp_ne_u32_e32 vcc_lo, 22, v23
	v_or_b32_sdwa v26, v36, v26 dst_sel:DWORD dst_unused:UNUSED_PAD src0_sel:BYTE_0 src1_sel:DWORD
	v_cndmask_b32_e32 v29, 17, v29, vcc_lo
	v_cmp_ne_u32_e32 vcc_lo, 3, v23
	v_lshrrev_b32_e32 v36, 16, v20
	v_or_b32_sdwa v27, v29, v27 dst_sel:WORD_1 dst_unused:UNUSED_PAD src0_sel:BYTE_0 src1_sel:DWORD
	v_cndmask_b32_e32 v28, 17, v28, vcc_lo
	v_cmp_ne_u32_e32 vcc_lo, 2, v23
	v_or_b32_sdwa v26, v26, v27 dst_sel:DWORD dst_unused:UNUSED_PAD src0_sel:WORD_0 src1_sel:DWORD
	v_lshlrev_b16 v28, 8, v28
	v_cndmask_b32_e32 v29, 17, v37, vcc_lo
	v_cmp_eq_u32_e32 vcc_lo, 0, v22
	v_lshrrev_b32_e32 v22, 8, v20
	v_lshrrev_b32_e32 v37, 24, v16
	v_or_b32_sdwa v27, v29, v28 dst_sel:WORD_1 dst_unused:UNUSED_PAD src0_sel:BYTE_0 src1_sel:DWORD
	v_lshrrev_b32_e32 v29, 8, v16
	v_cndmask_b32_e64 v22, 17, v22, s4
	v_cmp_ne_u32_e64 s4, 7, v23
	v_cndmask_b32_e32 v17, v26, v17, vcc_lo
	v_or_b32_sdwa v24, v24, v27 dst_sel:DWORD dst_unused:UNUSED_PAD src0_sel:WORD_0 src1_sel:DWORD
	v_lshlrev_b16 v22, 8, v22
	v_cndmask_b32_e64 v25, 17, v25, s4
	v_cmp_ne_u32_e64 s4, 4, v23
	v_cndmask_b32_e32 v19, v24, v19, vcc_lo
	v_lshrrev_b32_e32 v26, 8, v17
	v_lshlrev_b16 v25, 8, v25
	v_cndmask_b32_e64 v28, 17, v20, s4
	v_cmp_ne_u32_e64 s4, 9, v23
	v_lshrrev_b32_e32 v24, 8, v19
	v_or_b32_sdwa v22, v28, v22 dst_sel:DWORD dst_unused:UNUSED_PAD src0_sel:BYTE_0 src1_sel:DWORD
	v_cndmask_b32_e64 v29, 17, v29, s4
	v_cmp_ne_u32_e64 s4, 6, v23
	v_lshlrev_b16 v29, 8, v29
	v_cndmask_b32_e64 v36, 17, v36, s4
	v_cmp_ne_u32_e64 s4, 8, v23
	v_or_b32_sdwa v25, v36, v25 dst_sel:WORD_1 dst_unused:UNUSED_PAD src0_sel:BYTE_0 src1_sel:DWORD
	v_cndmask_b32_e64 v38, 17, v16, s4
	v_cmp_ne_u32_e64 s4, 11, v23
	v_or_b32_sdwa v22, v22, v25 dst_sel:DWORD dst_unused:UNUSED_PAD src0_sel:WORD_0 src1_sel:DWORD
	v_or_b32_sdwa v28, v38, v29 dst_sel:DWORD dst_unused:UNUSED_PAD src0_sel:BYTE_0 src1_sel:DWORD
	v_cndmask_b32_e64 v37, 17, v37, s4
	v_lshrrev_b32_e32 v29, 8, v18
	v_cmp_ne_u32_e64 s4, 13, v23
	v_lshrrev_b32_e32 v38, 16, v16
	v_cndmask_b32_e32 v20, v22, v20, vcc_lo
	v_lshlrev_b16 v36, 8, v37
	v_lshrrev_b32_e32 v37, 24, v18
	v_cndmask_b32_e64 v29, 17, v29, s4
	v_cmp_ne_u32_e64 s4, 15, v23
	v_and_b32_e32 v22, 0x40000, v10
	v_lshlrev_b16 v29, 8, v29
	v_cndmask_b32_e64 v37, 17, v37, s4
	v_cmp_ne_u32_e64 s4, 12, v23
	v_lshlrev_b16 v37, 8, v37
	v_cndmask_b32_e64 v39, 17, v18, s4
	v_cmp_ne_u32_e64 s4, 14, v23
	v_or_b32_sdwa v29, v39, v29 dst_sel:DWORD dst_unused:UNUSED_PAD src0_sel:BYTE_0 src1_sel:DWORD
	v_cndmask_b32_e64 v40, 17, v40, s4
	v_cmp_ne_u32_e64 s4, 17, v23
	v_or_b32_sdwa v37, v40, v37 dst_sel:WORD_1 dst_unused:UNUSED_PAD src0_sel:BYTE_0 src1_sel:DWORD
	v_cndmask_b32_e64 v41, 17, v41, s4
	v_cmp_ne_u32_e64 s4, 19, v23
	v_or_b32_sdwa v27, v29, v37 dst_sel:DWORD dst_unused:UNUSED_PAD src0_sel:WORD_0 src1_sel:DWORD
	v_lshlrev_b16 v41, 8, v41
	v_cndmask_b32_e64 v42, 17, v42, s4
	v_cmp_ne_u32_e64 s4, 16, v23
	v_bfe_u32 v29, v10, 17, 1
	v_cndmask_b32_e32 v18, v27, v18, vcc_lo
	v_lshrrev_b32_e32 v27, 24, v17
	v_lshlrev_b16 v42, 8, v42
	v_cndmask_b32_e64 v44, 17, v21, s4
	v_cmp_ne_u32_e64 s4, 18, v23
	v_lshrrev_b32_e32 v37, 16, v19
	v_lshrrev_b32_e32 v40, 16, v18
	v_or_b32_sdwa v39, v44, v41 dst_sel:DWORD dst_unused:UNUSED_PAD src0_sel:BYTE_0 src1_sel:DWORD
	v_cndmask_b32_e64 v43, 17, v43, s4
	v_cmp_ne_u32_e64 s4, 10, v23
	v_add_nc_u32_e32 v23, v23, v29
	v_lshrrev_b32_e32 v29, 16, v17
	v_or_b32_sdwa v41, v43, v42 dst_sel:WORD_1 dst_unused:UNUSED_PAD src0_sel:BYTE_0 src1_sel:DWORD
	v_cndmask_b32_e64 v38, 17, v38, s4
	v_cmp_ne_u32_e64 s4, 5, v23
	v_or_b32_sdwa v25, v39, v41 dst_sel:DWORD dst_unused:UNUSED_PAD src0_sel:WORD_0 src1_sel:DWORD
	v_or_b32_sdwa v36, v38, v36 dst_sel:WORD_1 dst_unused:UNUSED_PAD src0_sel:BYTE_0 src1_sel:DWORD
	v_cndmask_b32_e32 v21, v25, v21, vcc_lo
	v_or_b32_sdwa v28, v28, v36 dst_sel:DWORD dst_unused:UNUSED_PAD src0_sel:WORD_0 src1_sel:DWORD
	v_lshrrev_b32_e32 v41, 8, v21
	v_cndmask_b32_e32 v16, v28, v16, vcc_lo
	v_cmp_ne_u32_e32 vcc_lo, 0, v23
	v_lshrrev_b32_e32 v28, 24, v19
	v_lshrrev_b32_e32 v42, 24, v21
	;; [unrolled: 1-line block ×3, first 2 shown]
	v_cndmask_b32_e32 v25, 18, v19, vcc_lo
	v_cmp_ne_u32_e32 vcc_lo, 1, v23
	v_cndmask_b32_e32 v24, 18, v24, vcc_lo
	v_cmp_ne_u32_e32 vcc_lo, 21, v23
	v_lshlrev_b16 v24, 8, v24
	v_cndmask_b32_e32 v26, 18, v26, vcc_lo
	v_cmp_ne_u32_e32 vcc_lo, 23, v23
	v_or_b32_sdwa v24, v25, v24 dst_sel:DWORD dst_unused:UNUSED_PAD src0_sel:BYTE_0 src1_sel:DWORD
	v_lshlrev_b16 v26, 8, v26
	v_cndmask_b32_e32 v27, 18, v27, vcc_lo
	v_cmp_ne_u32_e32 vcc_lo, 20, v23
	v_lshrrev_b32_e32 v25, 24, v20
	v_lshlrev_b16 v27, 8, v27
	v_cndmask_b32_e32 v36, 18, v17, vcc_lo
	v_cmp_ne_u32_e32 vcc_lo, 22, v23
	v_or_b32_sdwa v26, v36, v26 dst_sel:DWORD dst_unused:UNUSED_PAD src0_sel:BYTE_0 src1_sel:DWORD
	v_cndmask_b32_e32 v29, 18, v29, vcc_lo
	v_cmp_ne_u32_e32 vcc_lo, 3, v23
	v_lshrrev_b32_e32 v36, 16, v20
	v_or_b32_sdwa v27, v29, v27 dst_sel:WORD_1 dst_unused:UNUSED_PAD src0_sel:BYTE_0 src1_sel:DWORD
	v_cndmask_b32_e32 v28, 18, v28, vcc_lo
	v_cmp_ne_u32_e32 vcc_lo, 2, v23
	v_or_b32_sdwa v26, v26, v27 dst_sel:DWORD dst_unused:UNUSED_PAD src0_sel:WORD_0 src1_sel:DWORD
	v_lshlrev_b16 v28, 8, v28
	v_cndmask_b32_e32 v29, 18, v37, vcc_lo
	v_cmp_eq_u32_e32 vcc_lo, 0, v22
	v_lshrrev_b32_e32 v22, 8, v20
	v_lshrrev_b32_e32 v37, 24, v16
	v_or_b32_sdwa v27, v29, v28 dst_sel:WORD_1 dst_unused:UNUSED_PAD src0_sel:BYTE_0 src1_sel:DWORD
	v_lshrrev_b32_e32 v29, 8, v16
	v_cndmask_b32_e64 v22, 18, v22, s4
	v_cmp_ne_u32_e64 s4, 7, v23
	v_cndmask_b32_e32 v17, v26, v17, vcc_lo
	v_or_b32_sdwa v24, v24, v27 dst_sel:DWORD dst_unused:UNUSED_PAD src0_sel:WORD_0 src1_sel:DWORD
	v_lshlrev_b16 v22, 8, v22
	v_cndmask_b32_e64 v25, 18, v25, s4
	v_cmp_ne_u32_e64 s4, 4, v23
	v_cndmask_b32_e32 v19, v24, v19, vcc_lo
	v_lshrrev_b32_e32 v26, 8, v17
	v_lshlrev_b16 v25, 8, v25
	v_cndmask_b32_e64 v28, 18, v20, s4
	v_cmp_ne_u32_e64 s4, 9, v23
	v_lshrrev_b32_e32 v24, 8, v19
	v_or_b32_sdwa v22, v28, v22 dst_sel:DWORD dst_unused:UNUSED_PAD src0_sel:BYTE_0 src1_sel:DWORD
	v_cndmask_b32_e64 v29, 18, v29, s4
	v_cmp_ne_u32_e64 s4, 6, v23
	v_lshlrev_b16 v29, 8, v29
	v_cndmask_b32_e64 v36, 18, v36, s4
	v_cmp_ne_u32_e64 s4, 8, v23
	v_or_b32_sdwa v25, v36, v25 dst_sel:WORD_1 dst_unused:UNUSED_PAD src0_sel:BYTE_0 src1_sel:DWORD
	v_cndmask_b32_e64 v38, 18, v16, s4
	v_cmp_ne_u32_e64 s4, 11, v23
	v_or_b32_sdwa v22, v22, v25 dst_sel:DWORD dst_unused:UNUSED_PAD src0_sel:WORD_0 src1_sel:DWORD
	v_or_b32_sdwa v28, v38, v29 dst_sel:DWORD dst_unused:UNUSED_PAD src0_sel:BYTE_0 src1_sel:DWORD
	v_cndmask_b32_e64 v37, 18, v37, s4
	v_lshrrev_b32_e32 v29, 8, v18
	v_cmp_ne_u32_e64 s4, 13, v23
	v_lshrrev_b32_e32 v38, 16, v16
	v_cndmask_b32_e32 v20, v22, v20, vcc_lo
	v_lshlrev_b16 v36, 8, v37
	v_lshrrev_b32_e32 v37, 24, v18
	v_cndmask_b32_e64 v29, 18, v29, s4
	v_cmp_ne_u32_e64 s4, 15, v23
	v_and_b32_e32 v22, 0x80000, v10
	v_lshlrev_b16 v29, 8, v29
	v_cndmask_b32_e64 v37, 18, v37, s4
	v_cmp_ne_u32_e64 s4, 12, v23
	v_lshlrev_b16 v37, 8, v37
	v_cndmask_b32_e64 v39, 18, v18, s4
	v_cmp_ne_u32_e64 s4, 14, v23
	v_or_b32_sdwa v29, v39, v29 dst_sel:DWORD dst_unused:UNUSED_PAD src0_sel:BYTE_0 src1_sel:DWORD
	v_cndmask_b32_e64 v40, 18, v40, s4
	v_cmp_ne_u32_e64 s4, 17, v23
	v_or_b32_sdwa v37, v40, v37 dst_sel:WORD_1 dst_unused:UNUSED_PAD src0_sel:BYTE_0 src1_sel:DWORD
	v_cndmask_b32_e64 v41, 18, v41, s4
	v_cmp_ne_u32_e64 s4, 19, v23
	v_or_b32_sdwa v27, v29, v37 dst_sel:DWORD dst_unused:UNUSED_PAD src0_sel:WORD_0 src1_sel:DWORD
	v_lshlrev_b16 v41, 8, v41
	v_cndmask_b32_e64 v42, 18, v42, s4
	v_cmp_ne_u32_e64 s4, 16, v23
	v_bfe_u32 v29, v10, 18, 1
	v_cndmask_b32_e32 v18, v27, v18, vcc_lo
	v_lshrrev_b32_e32 v27, 24, v17
	v_lshlrev_b16 v42, 8, v42
	v_cndmask_b32_e64 v44, 18, v21, s4
	v_cmp_ne_u32_e64 s4, 18, v23
	v_lshrrev_b32_e32 v37, 16, v19
	v_lshrrev_b32_e32 v40, 16, v18
	v_or_b32_sdwa v39, v44, v41 dst_sel:DWORD dst_unused:UNUSED_PAD src0_sel:BYTE_0 src1_sel:DWORD
	v_cndmask_b32_e64 v43, 18, v43, s4
	v_cmp_ne_u32_e64 s4, 10, v23
	v_add_nc_u32_e32 v23, v23, v29
	v_lshrrev_b32_e32 v29, 16, v17
	v_or_b32_sdwa v41, v43, v42 dst_sel:WORD_1 dst_unused:UNUSED_PAD src0_sel:BYTE_0 src1_sel:DWORD
	v_cndmask_b32_e64 v38, 18, v38, s4
	v_cmp_ne_u32_e64 s4, 5, v23
	v_or_b32_sdwa v25, v39, v41 dst_sel:DWORD dst_unused:UNUSED_PAD src0_sel:WORD_0 src1_sel:DWORD
	v_or_b32_sdwa v36, v38, v36 dst_sel:WORD_1 dst_unused:UNUSED_PAD src0_sel:BYTE_0 src1_sel:DWORD
	v_cndmask_b32_e32 v21, v25, v21, vcc_lo
	v_or_b32_sdwa v28, v28, v36 dst_sel:DWORD dst_unused:UNUSED_PAD src0_sel:WORD_0 src1_sel:DWORD
	v_lshrrev_b32_e32 v41, 8, v21
	v_cndmask_b32_e32 v16, v28, v16, vcc_lo
	v_cmp_ne_u32_e32 vcc_lo, 0, v23
	v_lshrrev_b32_e32 v28, 24, v19
	v_lshrrev_b32_e32 v42, 24, v21
	;; [unrolled: 1-line block ×3, first 2 shown]
	v_cndmask_b32_e32 v25, 19, v19, vcc_lo
	v_cmp_ne_u32_e32 vcc_lo, 1, v23
	v_cndmask_b32_e32 v24, 19, v24, vcc_lo
	v_cmp_ne_u32_e32 vcc_lo, 21, v23
	v_lshlrev_b16 v24, 8, v24
	v_cndmask_b32_e32 v26, 19, v26, vcc_lo
	v_cmp_ne_u32_e32 vcc_lo, 23, v23
	v_or_b32_sdwa v24, v25, v24 dst_sel:DWORD dst_unused:UNUSED_PAD src0_sel:BYTE_0 src1_sel:DWORD
	v_lshlrev_b16 v26, 8, v26
	v_cndmask_b32_e32 v27, 19, v27, vcc_lo
	v_cmp_ne_u32_e32 vcc_lo, 20, v23
	v_lshrrev_b32_e32 v25, 24, v20
	v_lshlrev_b16 v27, 8, v27
	v_cndmask_b32_e32 v36, 19, v17, vcc_lo
	v_cmp_ne_u32_e32 vcc_lo, 22, v23
	v_or_b32_sdwa v26, v36, v26 dst_sel:DWORD dst_unused:UNUSED_PAD src0_sel:BYTE_0 src1_sel:DWORD
	v_cndmask_b32_e32 v29, 19, v29, vcc_lo
	v_cmp_ne_u32_e32 vcc_lo, 3, v23
	v_lshrrev_b32_e32 v36, 16, v20
	v_or_b32_sdwa v27, v29, v27 dst_sel:WORD_1 dst_unused:UNUSED_PAD src0_sel:BYTE_0 src1_sel:DWORD
	v_cndmask_b32_e32 v28, 19, v28, vcc_lo
	v_cmp_ne_u32_e32 vcc_lo, 2, v23
	v_or_b32_sdwa v26, v26, v27 dst_sel:DWORD dst_unused:UNUSED_PAD src0_sel:WORD_0 src1_sel:DWORD
	v_lshlrev_b16 v28, 8, v28
	v_cndmask_b32_e32 v29, 19, v37, vcc_lo
	v_cmp_eq_u32_e32 vcc_lo, 0, v22
	v_lshrrev_b32_e32 v22, 8, v20
	v_lshrrev_b32_e32 v37, 24, v16
	v_or_b32_sdwa v27, v29, v28 dst_sel:WORD_1 dst_unused:UNUSED_PAD src0_sel:BYTE_0 src1_sel:DWORD
	v_lshrrev_b32_e32 v29, 8, v16
	v_cndmask_b32_e64 v22, 19, v22, s4
	v_cmp_ne_u32_e64 s4, 7, v23
	v_cndmask_b32_e32 v17, v26, v17, vcc_lo
	v_or_b32_sdwa v24, v24, v27 dst_sel:DWORD dst_unused:UNUSED_PAD src0_sel:WORD_0 src1_sel:DWORD
	v_lshlrev_b16 v22, 8, v22
	v_cndmask_b32_e64 v25, 19, v25, s4
	v_cmp_ne_u32_e64 s4, 4, v23
	v_cndmask_b32_e32 v19, v24, v19, vcc_lo
	v_lshrrev_b32_e32 v26, 8, v17
	v_lshlrev_b16 v25, 8, v25
	v_cndmask_b32_e64 v28, 19, v20, s4
	v_cmp_ne_u32_e64 s4, 9, v23
	v_lshrrev_b32_e32 v24, 8, v19
	v_or_b32_sdwa v22, v28, v22 dst_sel:DWORD dst_unused:UNUSED_PAD src0_sel:BYTE_0 src1_sel:DWORD
	v_cndmask_b32_e64 v29, 19, v29, s4
	v_cmp_ne_u32_e64 s4, 6, v23
	v_lshlrev_b16 v29, 8, v29
	v_cndmask_b32_e64 v36, 19, v36, s4
	v_cmp_ne_u32_e64 s4, 8, v23
	v_or_b32_sdwa v25, v36, v25 dst_sel:WORD_1 dst_unused:UNUSED_PAD src0_sel:BYTE_0 src1_sel:DWORD
	v_cndmask_b32_e64 v38, 19, v16, s4
	v_cmp_ne_u32_e64 s4, 11, v23
	v_or_b32_sdwa v22, v22, v25 dst_sel:DWORD dst_unused:UNUSED_PAD src0_sel:WORD_0 src1_sel:DWORD
	v_or_b32_sdwa v28, v38, v29 dst_sel:DWORD dst_unused:UNUSED_PAD src0_sel:BYTE_0 src1_sel:DWORD
	v_cndmask_b32_e64 v37, 19, v37, s4
	v_lshrrev_b32_e32 v29, 8, v18
	v_cmp_ne_u32_e64 s4, 13, v23
	v_lshrrev_b32_e32 v38, 16, v16
	v_cndmask_b32_e32 v20, v22, v20, vcc_lo
	v_lshlrev_b16 v36, 8, v37
	v_lshrrev_b32_e32 v37, 24, v18
	v_cndmask_b32_e64 v29, 19, v29, s4
	v_cmp_ne_u32_e64 s4, 15, v23
	v_and_b32_e32 v22, 0x100000, v10
	v_lshlrev_b16 v29, 8, v29
	v_cndmask_b32_e64 v37, 19, v37, s4
	v_cmp_ne_u32_e64 s4, 12, v23
	v_lshlrev_b16 v37, 8, v37
	v_cndmask_b32_e64 v39, 19, v18, s4
	v_cmp_ne_u32_e64 s4, 14, v23
	v_or_b32_sdwa v29, v39, v29 dst_sel:DWORD dst_unused:UNUSED_PAD src0_sel:BYTE_0 src1_sel:DWORD
	v_cndmask_b32_e64 v40, 19, v40, s4
	v_cmp_ne_u32_e64 s4, 17, v23
	v_or_b32_sdwa v37, v40, v37 dst_sel:WORD_1 dst_unused:UNUSED_PAD src0_sel:BYTE_0 src1_sel:DWORD
	v_cndmask_b32_e64 v41, 19, v41, s4
	v_cmp_ne_u32_e64 s4, 19, v23
	v_or_b32_sdwa v27, v29, v37 dst_sel:DWORD dst_unused:UNUSED_PAD src0_sel:WORD_0 src1_sel:DWORD
	v_lshlrev_b16 v41, 8, v41
	v_cndmask_b32_e64 v42, 19, v42, s4
	v_cmp_ne_u32_e64 s4, 16, v23
	v_bfe_u32 v29, v10, 19, 1
	v_cndmask_b32_e32 v18, v27, v18, vcc_lo
	v_lshrrev_b32_e32 v27, 24, v17
	v_lshlrev_b16 v42, 8, v42
	v_cndmask_b32_e64 v44, 19, v21, s4
	v_cmp_ne_u32_e64 s4, 18, v23
	v_lshrrev_b32_e32 v37, 16, v19
	v_lshrrev_b32_e32 v40, 16, v18
	v_or_b32_sdwa v39, v44, v41 dst_sel:DWORD dst_unused:UNUSED_PAD src0_sel:BYTE_0 src1_sel:DWORD
	v_cndmask_b32_e64 v43, 19, v43, s4
	v_cmp_ne_u32_e64 s4, 10, v23
	v_add_nc_u32_e32 v23, v23, v29
	v_lshrrev_b32_e32 v29, 16, v17
	v_or_b32_sdwa v41, v43, v42 dst_sel:WORD_1 dst_unused:UNUSED_PAD src0_sel:BYTE_0 src1_sel:DWORD
	v_cndmask_b32_e64 v38, 19, v38, s4
	v_cmp_ne_u32_e64 s4, 5, v23
	v_or_b32_sdwa v25, v39, v41 dst_sel:DWORD dst_unused:UNUSED_PAD src0_sel:WORD_0 src1_sel:DWORD
	v_or_b32_sdwa v36, v38, v36 dst_sel:WORD_1 dst_unused:UNUSED_PAD src0_sel:BYTE_0 src1_sel:DWORD
	v_cndmask_b32_e32 v21, v25, v21, vcc_lo
	v_or_b32_sdwa v28, v28, v36 dst_sel:DWORD dst_unused:UNUSED_PAD src0_sel:WORD_0 src1_sel:DWORD
	v_lshrrev_b32_e32 v41, 8, v21
	v_cndmask_b32_e32 v16, v28, v16, vcc_lo
	v_cmp_ne_u32_e32 vcc_lo, 0, v23
	v_lshrrev_b32_e32 v28, 24, v19
	v_lshrrev_b32_e32 v42, 24, v21
	;; [unrolled: 1-line block ×3, first 2 shown]
	v_cndmask_b32_e32 v25, 20, v19, vcc_lo
	v_cmp_ne_u32_e32 vcc_lo, 1, v23
	v_cndmask_b32_e32 v24, 20, v24, vcc_lo
	v_cmp_ne_u32_e32 vcc_lo, 21, v23
	v_lshlrev_b16 v24, 8, v24
	v_cndmask_b32_e32 v26, 20, v26, vcc_lo
	v_cmp_ne_u32_e32 vcc_lo, 23, v23
	v_or_b32_sdwa v24, v25, v24 dst_sel:DWORD dst_unused:UNUSED_PAD src0_sel:BYTE_0 src1_sel:DWORD
	v_lshlrev_b16 v26, 8, v26
	v_cndmask_b32_e32 v27, 20, v27, vcc_lo
	v_cmp_ne_u32_e32 vcc_lo, 20, v23
	v_lshrrev_b32_e32 v25, 24, v20
	v_lshlrev_b16 v27, 8, v27
	v_cndmask_b32_e32 v36, 20, v17, vcc_lo
	v_cmp_ne_u32_e32 vcc_lo, 22, v23
	v_or_b32_sdwa v26, v36, v26 dst_sel:DWORD dst_unused:UNUSED_PAD src0_sel:BYTE_0 src1_sel:DWORD
	v_cndmask_b32_e32 v29, 20, v29, vcc_lo
	v_cmp_ne_u32_e32 vcc_lo, 3, v23
	v_lshrrev_b32_e32 v36, 16, v20
	v_or_b32_sdwa v27, v29, v27 dst_sel:WORD_1 dst_unused:UNUSED_PAD src0_sel:BYTE_0 src1_sel:DWORD
	v_cndmask_b32_e32 v28, 20, v28, vcc_lo
	v_cmp_ne_u32_e32 vcc_lo, 2, v23
	v_or_b32_sdwa v26, v26, v27 dst_sel:DWORD dst_unused:UNUSED_PAD src0_sel:WORD_0 src1_sel:DWORD
	v_lshlrev_b16 v28, 8, v28
	v_cndmask_b32_e32 v29, 20, v37, vcc_lo
	v_cmp_eq_u32_e32 vcc_lo, 0, v22
	v_lshrrev_b32_e32 v22, 8, v20
	v_lshrrev_b32_e32 v37, 24, v16
	v_or_b32_sdwa v27, v29, v28 dst_sel:WORD_1 dst_unused:UNUSED_PAD src0_sel:BYTE_0 src1_sel:DWORD
	v_lshrrev_b32_e32 v29, 8, v16
	v_cndmask_b32_e64 v22, 20, v22, s4
	v_cmp_ne_u32_e64 s4, 7, v23
	v_cndmask_b32_e32 v17, v26, v17, vcc_lo
	v_or_b32_sdwa v24, v24, v27 dst_sel:DWORD dst_unused:UNUSED_PAD src0_sel:WORD_0 src1_sel:DWORD
	v_lshlrev_b16 v22, 8, v22
	v_cndmask_b32_e64 v25, 20, v25, s4
	v_cmp_ne_u32_e64 s4, 4, v23
	v_cndmask_b32_e32 v19, v24, v19, vcc_lo
	v_lshrrev_b32_e32 v26, 8, v17
	v_lshlrev_b16 v25, 8, v25
	v_cndmask_b32_e64 v28, 20, v20, s4
	v_cmp_ne_u32_e64 s4, 9, v23
	v_lshrrev_b32_e32 v24, 8, v19
	v_or_b32_sdwa v22, v28, v22 dst_sel:DWORD dst_unused:UNUSED_PAD src0_sel:BYTE_0 src1_sel:DWORD
	v_cndmask_b32_e64 v29, 20, v29, s4
	v_cmp_ne_u32_e64 s4, 6, v23
	v_lshlrev_b16 v29, 8, v29
	v_cndmask_b32_e64 v36, 20, v36, s4
	v_cmp_ne_u32_e64 s4, 8, v23
	v_or_b32_sdwa v25, v36, v25 dst_sel:WORD_1 dst_unused:UNUSED_PAD src0_sel:BYTE_0 src1_sel:DWORD
	v_cndmask_b32_e64 v38, 20, v16, s4
	v_cmp_ne_u32_e64 s4, 11, v23
	v_or_b32_sdwa v22, v22, v25 dst_sel:DWORD dst_unused:UNUSED_PAD src0_sel:WORD_0 src1_sel:DWORD
	v_or_b32_sdwa v28, v38, v29 dst_sel:DWORD dst_unused:UNUSED_PAD src0_sel:BYTE_0 src1_sel:DWORD
	v_cndmask_b32_e64 v37, 20, v37, s4
	v_lshrrev_b32_e32 v29, 8, v18
	v_cmp_ne_u32_e64 s4, 13, v23
	v_lshrrev_b32_e32 v38, 16, v16
	v_cndmask_b32_e32 v20, v22, v20, vcc_lo
	v_lshlrev_b16 v36, 8, v37
	v_lshrrev_b32_e32 v37, 24, v18
	v_cndmask_b32_e64 v29, 20, v29, s4
	v_cmp_ne_u32_e64 s4, 15, v23
	v_and_b32_e32 v22, 0x200000, v10
	v_lshlrev_b16 v29, 8, v29
	v_cndmask_b32_e64 v37, 20, v37, s4
	v_cmp_ne_u32_e64 s4, 12, v23
	v_lshlrev_b16 v37, 8, v37
	v_cndmask_b32_e64 v39, 20, v18, s4
	v_cmp_ne_u32_e64 s4, 14, v23
	v_or_b32_sdwa v29, v39, v29 dst_sel:DWORD dst_unused:UNUSED_PAD src0_sel:BYTE_0 src1_sel:DWORD
	v_cndmask_b32_e64 v40, 20, v40, s4
	v_cmp_ne_u32_e64 s4, 17, v23
	v_or_b32_sdwa v37, v40, v37 dst_sel:WORD_1 dst_unused:UNUSED_PAD src0_sel:BYTE_0 src1_sel:DWORD
	v_cndmask_b32_e64 v41, 20, v41, s4
	v_cmp_ne_u32_e64 s4, 19, v23
	v_or_b32_sdwa v27, v29, v37 dst_sel:DWORD dst_unused:UNUSED_PAD src0_sel:WORD_0 src1_sel:DWORD
	v_lshlrev_b16 v41, 8, v41
	v_cndmask_b32_e64 v42, 20, v42, s4
	v_cmp_ne_u32_e64 s4, 16, v23
	v_bfe_u32 v29, v10, 20, 1
	v_cndmask_b32_e32 v18, v27, v18, vcc_lo
	v_lshrrev_b32_e32 v27, 24, v17
	v_lshlrev_b16 v42, 8, v42
	v_cndmask_b32_e64 v44, 20, v21, s4
	v_cmp_ne_u32_e64 s4, 18, v23
	v_lshrrev_b32_e32 v37, 16, v19
	v_lshrrev_b32_e32 v40, 16, v18
	v_or_b32_sdwa v39, v44, v41 dst_sel:DWORD dst_unused:UNUSED_PAD src0_sel:BYTE_0 src1_sel:DWORD
	v_cndmask_b32_e64 v43, 20, v43, s4
	v_cmp_ne_u32_e64 s4, 10, v23
	v_add_nc_u32_e32 v23, v23, v29
	v_lshrrev_b32_e32 v29, 16, v17
	v_or_b32_sdwa v41, v43, v42 dst_sel:WORD_1 dst_unused:UNUSED_PAD src0_sel:BYTE_0 src1_sel:DWORD
	v_cndmask_b32_e64 v38, 20, v38, s4
	v_cmp_ne_u32_e64 s4, 5, v23
	v_or_b32_sdwa v25, v39, v41 dst_sel:DWORD dst_unused:UNUSED_PAD src0_sel:WORD_0 src1_sel:DWORD
	v_or_b32_sdwa v36, v38, v36 dst_sel:WORD_1 dst_unused:UNUSED_PAD src0_sel:BYTE_0 src1_sel:DWORD
	v_cndmask_b32_e32 v21, v25, v21, vcc_lo
	v_or_b32_sdwa v28, v28, v36 dst_sel:DWORD dst_unused:UNUSED_PAD src0_sel:WORD_0 src1_sel:DWORD
	v_lshrrev_b32_e32 v41, 8, v21
	v_cndmask_b32_e32 v16, v28, v16, vcc_lo
	v_cmp_ne_u32_e32 vcc_lo, 0, v23
	v_lshrrev_b32_e32 v28, 24, v19
	v_lshrrev_b32_e32 v42, 24, v21
	;; [unrolled: 1-line block ×4, first 2 shown]
	v_cndmask_b32_e32 v25, 21, v19, vcc_lo
	v_cmp_ne_u32_e32 vcc_lo, 1, v23
	v_cndmask_b32_e32 v24, 21, v24, vcc_lo
	v_cmp_ne_u32_e32 vcc_lo, 21, v23
	v_lshlrev_b16 v24, 8, v24
	v_cndmask_b32_e32 v26, 21, v26, vcc_lo
	v_cmp_ne_u32_e32 vcc_lo, 23, v23
	v_or_b32_sdwa v24, v25, v24 dst_sel:DWORD dst_unused:UNUSED_PAD src0_sel:BYTE_0 src1_sel:DWORD
	v_lshlrev_b16 v26, 8, v26
	v_cndmask_b32_e32 v27, 21, v27, vcc_lo
	v_cmp_ne_u32_e32 vcc_lo, 20, v23
	v_lshrrev_b32_e32 v25, 24, v20
	v_lshlrev_b16 v27, 8, v27
	v_cndmask_b32_e32 v36, 21, v17, vcc_lo
	v_cmp_ne_u32_e32 vcc_lo, 22, v23
	v_or_b32_sdwa v26, v36, v26 dst_sel:DWORD dst_unused:UNUSED_PAD src0_sel:BYTE_0 src1_sel:DWORD
	v_cndmask_b32_e32 v29, 21, v29, vcc_lo
	v_cmp_ne_u32_e32 vcc_lo, 3, v23
	v_lshrrev_b32_e32 v36, 8, v18
	v_or_b32_sdwa v27, v29, v27 dst_sel:WORD_1 dst_unused:UNUSED_PAD src0_sel:BYTE_0 src1_sel:DWORD
	v_cndmask_b32_e32 v28, 21, v28, vcc_lo
	v_cmp_ne_u32_e32 vcc_lo, 2, v23
	v_or_b32_sdwa v26, v26, v27 dst_sel:DWORD dst_unused:UNUSED_PAD src0_sel:WORD_0 src1_sel:DWORD
	v_lshlrev_b16 v28, 8, v28
	v_cndmask_b32_e32 v29, 21, v37, vcc_lo
	v_cmp_eq_u32_e32 vcc_lo, 0, v22
	v_lshrrev_b32_e32 v22, 8, v20
	v_lshrrev_b32_e32 v37, 24, v18
	v_or_b32_sdwa v27, v29, v28 dst_sel:WORD_1 dst_unused:UNUSED_PAD src0_sel:BYTE_0 src1_sel:DWORD
	v_lshrrev_b32_e32 v28, 16, v20
	v_cndmask_b32_e64 v22, 21, v22, s4
	v_cmp_ne_u32_e64 s4, 7, v23
	v_cndmask_b32_e32 v17, v26, v17, vcc_lo
	v_or_b32_sdwa v24, v24, v27 dst_sel:DWORD dst_unused:UNUSED_PAD src0_sel:WORD_0 src1_sel:DWORD
	v_lshrrev_b32_e32 v27, 8, v16
	v_lshlrev_b16 v22, 8, v22
	v_cndmask_b32_e64 v25, 21, v25, s4
	v_cmp_ne_u32_e64 s4, 4, v23
	v_bfe_u32 v26, v10, 21, 1
	v_cndmask_b32_e32 v19, v24, v19, vcc_lo
	v_lshlrev_b16 v25, 8, v25
	v_cndmask_b32_e64 v29, 21, v20, s4
	v_cmp_ne_u32_e64 s4, 6, v23
	v_or_b32_sdwa v22, v29, v22 dst_sel:DWORD dst_unused:UNUSED_PAD src0_sel:BYTE_0 src1_sel:DWORD
	v_cndmask_b32_e64 v28, 21, v28, s4
	v_cmp_ne_u32_e64 s4, 9, v23
	v_lshrrev_b32_e32 v29, 24, v16
	v_or_b32_sdwa v25, v28, v25 dst_sel:WORD_1 dst_unused:UNUSED_PAD src0_sel:BYTE_0 src1_sel:DWORD
	v_cndmask_b32_e64 v27, 21, v27, s4
	v_cmp_ne_u32_e64 s4, 11, v23
	v_or_b32_sdwa v22, v22, v25 dst_sel:DWORD dst_unused:UNUSED_PAD src0_sel:WORD_0 src1_sel:DWORD
	v_lshlrev_b16 v27, 8, v27
	v_cndmask_b32_e64 v28, 21, v29, s4
	v_cmp_ne_u32_e64 s4, 8, v23
	v_cndmask_b32_e32 v20, v22, v20, vcc_lo
	v_lshlrev_b16 v28, 8, v28
	v_cndmask_b32_e64 v29, 21, v16, s4
	v_cmp_ne_u32_e64 s4, 13, v23
	v_or_b32_sdwa v25, v29, v27 dst_sel:DWORD dst_unused:UNUSED_PAD src0_sel:BYTE_0 src1_sel:DWORD
	v_cndmask_b32_e64 v36, 21, v36, s4
	v_cmp_ne_u32_e64 s4, 15, v23
	v_lshlrev_b16 v36, 8, v36
	v_cndmask_b32_e64 v37, 21, v37, s4
	v_cmp_ne_u32_e64 s4, 12, v23
	v_lshlrev_b16 v37, 8, v37
	v_cndmask_b32_e64 v39, 21, v18, s4
	v_cmp_ne_u32_e64 s4, 14, v23
	v_or_b32_sdwa v36, v39, v36 dst_sel:DWORD dst_unused:UNUSED_PAD src0_sel:BYTE_0 src1_sel:DWORD
	v_cndmask_b32_e64 v40, 21, v40, s4
	v_cmp_ne_u32_e64 s4, 17, v23
	v_or_b32_sdwa v37, v40, v37 dst_sel:WORD_1 dst_unused:UNUSED_PAD src0_sel:BYTE_0 src1_sel:DWORD
	v_cndmask_b32_e64 v41, 21, v41, s4
	v_cmp_ne_u32_e64 s4, 19, v23
	v_lshlrev_b16 v41, 8, v41
	v_cndmask_b32_e64 v42, 21, v42, s4
	v_cmp_ne_u32_e64 s4, 16, v23
	v_lshlrev_b16 v42, 8, v42
	v_cndmask_b32_e64 v44, 21, v21, s4
	v_cmp_ne_u32_e64 s4, 18, v23
	v_or_b32_sdwa v39, v44, v41 dst_sel:DWORD dst_unused:UNUSED_PAD src0_sel:BYTE_0 src1_sel:DWORD
	v_cndmask_b32_e64 v43, 21, v43, s4
	v_cmp_ne_u32_e64 s4, 10, v23
	v_add_nc_u32_e32 v23, v23, v26
	v_lshrrev_b32_e32 v41, 24, v17
	v_or_b32_sdwa v40, v43, v42 dst_sel:WORD_1 dst_unused:UNUSED_PAD src0_sel:BYTE_0 src1_sel:DWORD
	v_cndmask_b32_e64 v38, 21, v38, s4
	v_lshrrev_b32_e32 v42, 16, v17
	v_or_b32_sdwa v29, v39, v40 dst_sel:DWORD dst_unused:UNUSED_PAD src0_sel:WORD_0 src1_sel:DWORD
	v_or_b32_sdwa v27, v38, v28 dst_sel:WORD_1 dst_unused:UNUSED_PAD src0_sel:BYTE_0 src1_sel:DWORD
	v_or_b32_sdwa v28, v36, v37 dst_sel:DWORD dst_unused:UNUSED_PAD src0_sel:WORD_0 src1_sel:DWORD
	v_lshrrev_b32_e32 v40, 8, v17
	v_cndmask_b32_e32 v21, v29, v21, vcc_lo
	v_or_b32_sdwa v24, v25, v27 dst_sel:DWORD dst_unused:UNUSED_PAD src0_sel:WORD_0 src1_sel:DWORD
	v_cndmask_b32_e32 v18, v28, v18, vcc_lo
	v_lshrrev_b32_e32 v25, 8, v19
	v_lshrrev_b32_e32 v28, 8, v20
	;; [unrolled: 1-line block ×3, first 2 shown]
	v_cndmask_b32_e32 v16, v24, v16, vcc_lo
	v_cmp_ne_u32_e32 vcc_lo, 1, v23
	v_lshrrev_b32_e32 v24, 24, v19
	v_lshrrev_b32_e32 v36, 8, v18
	;; [unrolled: 1-line block ×4, first 2 shown]
	v_cndmask_b32_e32 v22, 22, v25, vcc_lo
	v_cmp_ne_u32_e32 vcc_lo, 3, v23
	v_lshrrev_b32_e32 v25, 16, v19
	v_and_b32_e32 v27, 0x400000, v10
	v_lshlrev_b16 v22, 8, v22
	v_cndmask_b32_e32 v24, 22, v24, vcc_lo
	v_cmp_ne_u32_e32 vcc_lo, 0, v23
	v_lshlrev_b16 v24, 8, v24
	v_cndmask_b32_e32 v26, 22, v19, vcc_lo
	v_cmp_ne_u32_e32 vcc_lo, 2, v23
	v_or_b32_sdwa v22, v26, v22 dst_sel:DWORD dst_unused:UNUSED_PAD src0_sel:BYTE_0 src1_sel:DWORD
	v_cndmask_b32_e32 v25, 22, v25, vcc_lo
	v_cmp_ne_u32_e32 vcc_lo, 5, v23
	v_lshrrev_b32_e32 v26, 24, v20
	v_or_b32_sdwa v24, v25, v24 dst_sel:WORD_1 dst_unused:UNUSED_PAD src0_sel:BYTE_0 src1_sel:DWORD
	v_cndmask_b32_e32 v25, 22, v28, vcc_lo
	v_cmp_ne_u32_e32 vcc_lo, 7, v23
	v_lshrrev_b32_e32 v28, 16, v20
	v_or_b32_sdwa v22, v22, v24 dst_sel:DWORD dst_unused:UNUSED_PAD src0_sel:WORD_0 src1_sel:DWORD
	v_lshlrev_b16 v25, 8, v25
	v_cndmask_b32_e32 v26, 22, v26, vcc_lo
	v_cmp_ne_u32_e32 vcc_lo, 4, v23
	v_lshrrev_b32_e32 v24, 8, v16
	v_lshlrev_b16 v26, 8, v26
	v_cndmask_b32_e32 v29, 22, v20, vcc_lo
	v_cmp_ne_u32_e32 vcc_lo, 6, v23
	v_or_b32_sdwa v25, v29, v25 dst_sel:DWORD dst_unused:UNUSED_PAD src0_sel:BYTE_0 src1_sel:DWORD
	v_cndmask_b32_e32 v28, 22, v28, vcc_lo
	v_cmp_ne_u32_e32 vcc_lo, 9, v23
	v_lshrrev_b32_e32 v29, 24, v16
	v_or_b32_sdwa v26, v28, v26 dst_sel:WORD_1 dst_unused:UNUSED_PAD src0_sel:BYTE_0 src1_sel:DWORD
	v_cndmask_b32_e32 v24, 22, v24, vcc_lo
	v_cmp_ne_u32_e32 vcc_lo, 11, v23
	v_or_b32_sdwa v25, v25, v26 dst_sel:DWORD dst_unused:UNUSED_PAD src0_sel:WORD_0 src1_sel:DWORD
	v_lshlrev_b16 v24, 8, v24
	v_cndmask_b32_e32 v28, 22, v29, vcc_lo
	v_cmp_ne_u32_e32 vcc_lo, 8, v23
	v_lshlrev_b16 v28, 8, v28
	v_cndmask_b32_e32 v29, 22, v16, vcc_lo
	v_cmp_ne_u32_e32 vcc_lo, 13, v23
	v_or_b32_sdwa v24, v29, v24 dst_sel:DWORD dst_unused:UNUSED_PAD src0_sel:BYTE_0 src1_sel:DWORD
	v_cndmask_b32_e32 v36, 22, v36, vcc_lo
	v_cmp_ne_u32_e32 vcc_lo, 10, v23
	v_lshlrev_b16 v36, 8, v36
	v_cndmask_b32_e32 v37, 22, v37, vcc_lo
	v_cmp_ne_u32_e32 vcc_lo, 12, v23
	v_or_b32_sdwa v26, v37, v28 dst_sel:WORD_1 dst_unused:UNUSED_PAD src0_sel:BYTE_0 src1_sel:DWORD
	v_cndmask_b32_e32 v39, 22, v18, vcc_lo
	v_cmp_ne_u32_e32 vcc_lo, 15, v23
	v_lshrrev_b32_e32 v37, 8, v21
	v_or_b32_sdwa v24, v24, v26 dst_sel:DWORD dst_unused:UNUSED_PAD src0_sel:WORD_0 src1_sel:DWORD
	v_or_b32_sdwa v28, v39, v36 dst_sel:DWORD dst_unused:UNUSED_PAD src0_sel:BYTE_0 src1_sel:DWORD
	v_cndmask_b32_e32 v38, 22, v38, vcc_lo
	v_cmp_ne_u32_e32 vcc_lo, 16, v23
	v_lshrrev_b32_e32 v39, 24, v21
	v_lshrrev_b32_e32 v36, 16, v18
	v_lshlrev_b16 v29, 8, v38
	v_cndmask_b32_e32 v38, 22, v21, vcc_lo
	v_cmp_ne_u32_e32 vcc_lo, 17, v23
	v_cndmask_b32_e32 v37, 22, v37, vcc_lo
	v_cmp_ne_u32_e32 vcc_lo, 19, v23
	v_lshlrev_b16 v37, 8, v37
	v_cndmask_b32_e32 v39, 22, v39, vcc_lo
	v_cmp_ne_u32_e32 vcc_lo, 21, v23
	v_or_b32_sdwa v37, v38, v37 dst_sel:DWORD dst_unused:UNUSED_PAD src0_sel:BYTE_0 src1_sel:DWORD
	v_lshlrev_b16 v39, 8, v39
	v_cndmask_b32_e32 v40, 22, v40, vcc_lo
	v_cmp_ne_u32_e32 vcc_lo, 23, v23
	v_lshlrev_b16 v40, 8, v40
	v_cndmask_b32_e32 v41, 22, v41, vcc_lo
	v_cmp_ne_u32_e32 vcc_lo, 20, v23
	;; [unrolled: 3-line block ×3, first 2 shown]
	v_or_b32_sdwa v40, v43, v40 dst_sel:DWORD dst_unused:UNUSED_PAD src0_sel:BYTE_0 src1_sel:DWORD
	v_cndmask_b32_e32 v42, 22, v42, vcc_lo
	v_cmp_ne_u32_e32 vcc_lo, 18, v23
	v_or_b32_sdwa v41, v42, v41 dst_sel:WORD_1 dst_unused:UNUSED_PAD src0_sel:BYTE_0 src1_sel:DWORD
	v_cndmask_b32_e32 v42, 22, v44, vcc_lo
	v_cmp_ne_u32_e32 vcc_lo, 14, v23
	v_or_b32_sdwa v40, v40, v41 dst_sel:DWORD dst_unused:UNUSED_PAD src0_sel:WORD_0 src1_sel:DWORD
	v_or_b32_sdwa v38, v42, v39 dst_sel:WORD_1 dst_unused:UNUSED_PAD src0_sel:BYTE_0 src1_sel:DWORD
	v_cndmask_b32_e32 v36, 22, v36, vcc_lo
	v_bfe_u32 v39, v10, 22, 1
	v_cmp_eq_u32_e32 vcc_lo, 0, v27
	v_or_b32_sdwa v26, v37, v38 dst_sel:DWORD dst_unused:UNUSED_PAD src0_sel:WORD_0 src1_sel:DWORD
	v_or_b32_sdwa v27, v36, v29 dst_sel:WORD_1 dst_unused:UNUSED_PAD src0_sel:BYTE_0 src1_sel:DWORD
	v_add_nc_u32_e32 v23, v23, v39
	v_cndmask_b32_e32 v17, v40, v17, vcc_lo
	v_cndmask_b32_e32 v19, v22, v19, vcc_lo
	v_cndmask_b32_e32 v21, v26, v21, vcc_lo
	v_or_b32_sdwa v27, v28, v27 dst_sel:DWORD dst_unused:UNUSED_PAD src0_sel:WORD_0 src1_sel:DWORD
	v_cmp_ne_u32_e64 s4, 21, v23
	v_lshrrev_b32_e32 v29, 8, v17
	v_lshrrev_b32_e32 v28, 24, v17
	v_cndmask_b32_e32 v16, v24, v16, vcc_lo
	v_cndmask_b32_e32 v20, v25, v20, vcc_lo
	v_lshrrev_b32_e32 v25, 8, v19
	v_cndmask_b32_e64 v26, 23, v29, s4
	v_cmp_ne_u32_e64 s4, 23, v23
	v_lshrrev_b32_e32 v29, 16, v17
	v_cndmask_b32_e32 v18, v27, v18, vcc_lo
	v_lshrrev_b32_e32 v27, 24, v19
	v_lshlrev_b16 v26, 8, v26
	v_cndmask_b32_e64 v28, 23, v28, s4
	v_cmp_ne_u32_e64 s4, 20, v23
	v_lshrrev_b32_e32 v38, 24, v18
	v_lshrrev_b32_e32 v41, 16, v18
	;; [unrolled: 1-line block ×3, first 2 shown]
	v_lshlrev_b16 v28, 8, v28
	v_cndmask_b32_e64 v36, 23, v17, s4
	v_cmp_ne_u32_e64 s4, 22, v23
	v_lshrrev_b32_e32 v43, 24, v21
	v_lshrrev_b32_e32 v44, 16, v21
	;; [unrolled: 1-line block ×3, first 2 shown]
	v_or_b32_sdwa v22, v36, v26 dst_sel:DWORD dst_unused:UNUSED_PAD src0_sel:BYTE_0 src1_sel:DWORD
	v_cndmask_b32_e64 v29, 23, v29, s4
	v_cmp_ne_u32_e64 s4, 1, v23
	v_and_b32_e32 v26, 0x800000, v10
	v_bfe_u32 v10, v10, 23, 1
	v_or_b32_sdwa v24, v29, v28 dst_sel:WORD_1 dst_unused:UNUSED_PAD src0_sel:BYTE_0 src1_sel:DWORD
	v_lshrrev_b32_e32 v28, 16, v19
	v_cmp_eq_u32_e32 vcc_lo, 0, v26
	v_lshrrev_b32_e32 v29, 24, v20
	v_or_b32_sdwa v22, v22, v24 dst_sel:DWORD dst_unused:UNUSED_PAD src0_sel:WORD_0 src1_sel:DWORD
	v_cndmask_b32_e64 v24, 23, v25, s4
	v_cmp_ne_u32_e64 s4, 3, v23
	v_lshlrev_b16 v24, 8, v24
	v_cndmask_b32_e64 v25, 23, v27, s4
	v_cmp_ne_u32_e64 s4, 0, v23
	v_lshrrev_b32_e32 v27, 8, v20
	v_lshlrev_b16 v25, 8, v25
	v_cndmask_b32_e64 v26, 23, v19, s4
	v_cmp_ne_u32_e64 s4, 5, v23
	v_or_b32_sdwa v24, v26, v24 dst_sel:DWORD dst_unused:UNUSED_PAD src0_sel:BYTE_0 src1_sel:DWORD
	v_cndmask_b32_e64 v27, 23, v27, s4
	v_cmp_ne_u32_e64 s4, 2, v23
	v_lshrrev_b32_e32 v26, 8, v16
	v_lshlrev_b16 v27, 8, v27
	v_cndmask_b32_e64 v28, 23, v28, s4
	v_cmp_ne_u32_e64 s4, 4, v23
	v_or_b32_sdwa v25, v28, v25 dst_sel:WORD_1 dst_unused:UNUSED_PAD src0_sel:BYTE_0 src1_sel:DWORD
	v_cndmask_b32_e64 v36, 23, v20, s4
	v_cmp_ne_u32_e64 s4, 7, v23
	v_or_b32_sdwa v24, v24, v25 dst_sel:DWORD dst_unused:UNUSED_PAD src0_sel:WORD_0 src1_sel:DWORD
	v_or_b32_sdwa v27, v36, v27 dst_sel:DWORD dst_unused:UNUSED_PAD src0_sel:BYTE_0 src1_sel:DWORD
	v_cndmask_b32_e64 v29, 23, v29, s4
	v_cmp_ne_u32_e64 s4, 9, v23
	v_lshrrev_b32_e32 v36, 24, v16
	v_lshlrev_b16 v28, 8, v29
	v_cndmask_b32_e64 v26, 23, v26, s4
	v_cmp_ne_u32_e64 s4, 8, v23
	v_lshrrev_b32_e32 v29, 16, v20
	v_lshlrev_b16 v26, 8, v26
	v_cndmask_b32_e64 v37, 23, v16, s4
	v_cmp_ne_u32_e64 s4, 11, v23
	v_or_b32_sdwa v26, v37, v26 dst_sel:DWORD dst_unused:UNUSED_PAD src0_sel:BYTE_0 src1_sel:DWORD
	v_cndmask_b32_e64 v36, 23, v36, s4
	v_cmp_ne_u32_e64 s4, 6, v23
	v_lshrrev_b32_e32 v37, 8, v18
	v_lshlrev_b16 v36, 8, v36
	v_cndmask_b32_e64 v29, 23, v29, s4
	v_cmp_ne_u32_e64 s4, 13, v23
	v_or_b32_sdwa v28, v29, v28 dst_sel:WORD_1 dst_unused:UNUSED_PAD src0_sel:BYTE_0 src1_sel:DWORD
	v_cndmask_b32_e64 v37, 23, v37, s4
	v_cmp_ne_u32_e64 s4, 15, v23
	v_or_b32_sdwa v27, v27, v28 dst_sel:DWORD dst_unused:UNUSED_PAD src0_sel:WORD_0 src1_sel:DWORD
	v_lshlrev_b16 v37, 8, v37
	v_cndmask_b32_e64 v38, 23, v38, s4
	v_cmp_ne_u32_e64 s4, 12, v23
	v_lshlrev_b16 v38, 8, v38
	v_cndmask_b32_e64 v40, 23, v18, s4
	v_cmp_ne_u32_e64 s4, 14, v23
	v_or_b32_sdwa v37, v40, v37 dst_sel:DWORD dst_unused:UNUSED_PAD src0_sel:BYTE_0 src1_sel:DWORD
	v_cndmask_b32_e64 v41, 23, v41, s4
	v_cmp_ne_u32_e64 s4, 17, v23
	v_or_b32_sdwa v38, v41, v38 dst_sel:WORD_1 dst_unused:UNUSED_PAD src0_sel:BYTE_0 src1_sel:DWORD
	v_cndmask_b32_e64 v42, 23, v42, s4
	v_cmp_ne_u32_e64 s4, 19, v23
	v_cndmask_b32_e32 v41, v22, v17, vcc_lo
	v_or_b32_sdwa v29, v37, v38 dst_sel:DWORD dst_unused:UNUSED_PAD src0_sel:WORD_0 src1_sel:DWORD
	v_lshlrev_b16 v42, 8, v42
	v_cndmask_b32_e64 v43, 23, v43, s4
	v_cmp_ne_u32_e64 s4, 16, v23
	v_lshrrev_b32_e32 v72, 24, v41
	v_lshrrev_b32_e32 v74, 8, v41
	v_lshlrev_b16 v43, 8, v43
	v_cndmask_b32_e64 v45, 23, v21, s4
	v_cmp_ne_u32_e64 s4, 18, v23
	v_or_b32_sdwa v40, v45, v42 dst_sel:DWORD dst_unused:UNUSED_PAD src0_sel:BYTE_0 src1_sel:DWORD
	v_cndmask_b32_e64 v44, 23, v44, s4
	v_cmp_ne_u32_e64 s4, 10, v23
	v_cndmask_b32_e32 v45, v27, v20, vcc_lo
	v_or_b32_sdwa v42, v44, v43 dst_sel:WORD_1 dst_unused:UNUSED_PAD src0_sel:BYTE_0 src1_sel:DWORD
	v_cndmask_b32_e64 v39, 23, v39, s4
	v_cndmask_b32_e32 v43, v29, v18, vcc_lo
	v_cndmask_b32_e32 v44, v24, v19, vcc_lo
	v_lshrrev_b32_e32 v76, 24, v45
	v_or_b32_sdwa v25, v40, v42 dst_sel:DWORD dst_unused:UNUSED_PAD src0_sel:WORD_0 src1_sel:DWORD
	v_or_b32_sdwa v36, v39, v36 dst_sel:WORD_1 dst_unused:UNUSED_PAD src0_sel:BYTE_0 src1_sel:DWORD
	v_mul_f64 v[38:39], v[14:15], 0.5
	v_lshrrev_b64 v[46:47], 24, v[44:45]
	v_mov_b32_e32 v14, 0
	v_cndmask_b32_e32 v40, v25, v21, vcc_lo
	v_or_b32_sdwa v26, v26, v36 dst_sel:DWORD dst_unused:UNUSED_PAD src0_sel:WORD_0 src1_sel:DWORD
	v_mul_f64 v[36:37], v[12:13], 0.5
	v_mov_b32_e32 v12, 0
	v_lshrrev_b32_e32 v47, 16, v41
	v_lshrrev_b64 v[50:51], 24, v[40:41]
	v_cndmask_b32_e32 v42, v26, v16, vcc_lo
	v_add_nc_u32_e32 v51, v23, v10
	v_mov_b32_e32 v10, 0
	v_mov_b32_e32 v16, 0
	v_lshrrev_b32_e32 v73, 8, v40
	v_lshrrev_b64 v[48:49], 24, v[42:43]
	v_lshrrev_b32_e32 v49, 16, v40
	v_lshrrev_b32_e32 v79, 24, v43
	;; [unrolled: 1-line block ×10, first 2 shown]
	v_mov_b32_e32 v13, 0
	v_mov_b32_e32 v11, 0
	;; [unrolled: 1-line block ×4, first 2 shown]
	v_cmpx_ne_u32_e32 0, v51
	s_cbranch_execz .LBB1_284
; %bb.125:
	v_mov_b32_e32 v53, 0
	v_mov_b32_e32 v14, 0
	;; [unrolled: 1-line block ×5, first 2 shown]
	v_add_nc_u32_e32 v83, 0xa0, v69
	v_add_nc_u32_e32 v84, 0xa8, v69
	;; [unrolled: 1-line block ×4, first 2 shown]
	v_mov_b32_e32 v52, v53
	v_add_nc_u32_e32 v87, 0x98, v69
	v_add_nc_u32_e32 v88, -8, v69
	v_add_nc_u32_e32 v89, 0xa8, v69
	v_add_nc_u32_e32 v90, 24, v69
	;; [unrolled: 1-line block ×3, first 2 shown]
	v_mov_b32_e32 v15, 0
	v_mov_b32_e32 v92, 3
	;; [unrolled: 1-line block ×6, first 2 shown]
	s_mov_b32 s8, 0x55555555
	s_mov_b64 s[6:7], 0
	s_mov_b32 s9, 0x3fd55555
	s_branch .LBB1_127
.LBB1_126:                              ;   in Loop: Header=BB1_127 Depth=1
	s_or_b32 exec_lo, exec_lo, s4
	s_add_u32 s6, s6, 1
	s_addc_u32 s7, s7, 0
	v_cmp_eq_u64_e32 vcc_lo, s[6:7], v[51:52]
	s_or_b32 s10, vcc_lo, s10
	s_andn2_b32 exec_lo, exec_lo, s10
	s_cbranch_execz .LBB1_283
.LBB1_127:                              ; =>This Loop Header: Depth=1
                                        ;     Child Loop BB1_186 Depth 2
                                        ;     Child Loop BB1_200 Depth 2
	;; [unrolled: 1-line block ×11, first 2 shown]
	s_cmp_eq_u32 s6, 1
	s_mov_b32 s4, exec_lo
	s_cselect_b32 vcc_lo, -1, 0
	s_cmp_eq_u32 s6, 2
	v_cndmask_b32_e32 v18, v44, v75, vcc_lo
	s_cselect_b32 vcc_lo, -1, 0
	s_cmp_eq_u32 s6, 3
                                        ; implicit-def: $vgpr26
                                        ; implicit-def: $vgpr23
                                        ; implicit-def: $vgpr19
                                        ; implicit-def: $vgpr24
                                        ; implicit-def: $vgpr20
                                        ; implicit-def: $vgpr21
	v_cndmask_b32_e32 v18, v18, v77, vcc_lo
	s_cselect_b32 vcc_lo, -1, 0
	s_cmp_eq_u32 s6, 4
	v_cndmask_b32_e32 v18, v18, v46, vcc_lo
	s_cselect_b32 vcc_lo, -1, 0
	s_cmp_eq_u32 s6, 5
	;; [unrolled: 3-line block ×20, first 2 shown]
	v_cndmask_b32_e32 v18, v18, v47, vcc_lo
	s_cselect_b32 vcc_lo, -1, 0
	v_cndmask_b32_e32 v25, v18, v72, vcc_lo
                                        ; implicit-def: $vgpr18
	v_bfe_u32 v22, v25, 2, 6
	v_cmpx_lt_i32_e32 1, v22
	s_xor_b32 s4, exec_lo, s4
	s_cbranch_execz .LBB1_139
; %bb.128:                              ;   in Loop: Header=BB1_127 Depth=1
	s_mov_b32 s11, exec_lo
                                        ; implicit-def: $vgpr26
                                        ; implicit-def: $vgpr18
                                        ; implicit-def: $vgpr23
                                        ; implicit-def: $vgpr19
                                        ; implicit-def: $vgpr24
                                        ; implicit-def: $vgpr20
                                        ; implicit-def: $vgpr21
	v_cmpx_lt_i32_e32 2, v22
	s_xor_b32 s11, exec_lo, s11
	s_cbranch_execz .LBB1_136
; %bb.129:                              ;   in Loop: Header=BB1_127 Depth=1
	s_mov_b32 s12, exec_lo
                                        ; implicit-def: $vgpr26
                                        ; implicit-def: $vgpr18
                                        ; implicit-def: $vgpr23
                                        ; implicit-def: $vgpr19
                                        ; implicit-def: $vgpr24
                                        ; implicit-def: $vgpr20
                                        ; implicit-def: $vgpr21
	v_cmpx_lt_i32_e32 3, v22
	s_xor_b32 s12, exec_lo, s12
	s_cbranch_execz .LBB1_133
; %bb.130:                              ;   in Loop: Header=BB1_127 Depth=1
	s_mov_b32 s13, exec_lo
	v_cmpx_ne_u32_e32 4, v22
	s_xor_b32 s13, exec_lo, s13
	s_or_saveexec_b32 s13, s13
	v_mov_b32_e32 v22, 4
	v_mov_b32_e32 v24, 6
	;; [unrolled: 1-line block ×8, first 2 shown]
	s_xor_b32 exec_lo, exec_lo, s13
	s_cbranch_execz .LBB1_132
; %bb.131:                              ;   in Loop: Header=BB1_127 Depth=1
	v_mov_b32_e32 v22, 0
	v_mov_b32_e32 v24, 1
	;; [unrolled: 1-line block ×8, first 2 shown]
.LBB1_132:                              ;   in Loop: Header=BB1_127 Depth=1
	s_or_b32 exec_lo, exec_lo, s13
.LBB1_133:                              ;   in Loop: Header=BB1_127 Depth=1
	s_andn2_saveexec_b32 s12, s12
	s_cbranch_execz .LBB1_135
; %bb.134:                              ;   in Loop: Header=BB1_127 Depth=1
	v_mov_b32_e32 v22, 2
	v_mov_b32_e32 v24, 3
	;; [unrolled: 1-line block ×8, first 2 shown]
.LBB1_135:                              ;   in Loop: Header=BB1_127 Depth=1
	s_or_b32 exec_lo, exec_lo, s12
.LBB1_136:                              ;   in Loop: Header=BB1_127 Depth=1
	s_andn2_saveexec_b32 s11, s11
	s_cbranch_execz .LBB1_138
; %bb.137:                              ;   in Loop: Header=BB1_127 Depth=1
	v_mov_b32_e32 v22, 0
	v_mov_b32_e32 v24, 4
	;; [unrolled: 1-line block ×8, first 2 shown]
.LBB1_138:                              ;   in Loop: Header=BB1_127 Depth=1
	s_or_b32 exec_lo, exec_lo, s11
.LBB1_139:                              ;   in Loop: Header=BB1_127 Depth=1
	s_andn2_saveexec_b32 s4, s4
	s_cbranch_execz .LBB1_143
; %bb.140:                              ;   in Loop: Header=BB1_127 Depth=1
	v_mov_b32_e32 v24, 2
	v_mov_b32_e32 v23, 6
	v_mov_b32_e32 v26, 4
	v_mov_b32_e32 v21, 0xd0
	v_mov_b32_e32 v18, s24
	v_mov_b32_e32 v19, s22
	v_mov_b32_e32 v20, s23
	s_mov_b32 s11, exec_lo
	v_cmpx_lt_i32_e32 0, v22
	s_cbranch_execz .LBB1_142
; %bb.141:                              ;   in Loop: Header=BB1_127 Depth=1
	v_mov_b32_e32 v22, 1
	v_mov_b32_e32 v24, 5
	;; [unrolled: 1-line block ×8, first 2 shown]
.LBB1_142:                              ;   in Loop: Header=BB1_127 Depth=1
	s_or_b32 exec_lo, exec_lo, s11
.LBB1_143:                              ;   in Loop: Header=BB1_127 Depth=1
	s_or_b32 exec_lo, exec_lo, s4
	v_lshl_add_u32 v29, v22, 3, 0xd0
	v_lshl_add_u32 v62, v24, 3, 0xd0
	s_clause 0x7
	buffer_load_dword v27, v21, s[0:3], 0 offen
	buffer_load_dword v28, v21, s[0:3], 0 offen offset:4
	buffer_load_dword v54, v20, s[0:3], 0 offen
	buffer_load_dword v55, v20, s[0:3], 0 offen offset:4
	buffer_load_dword v20, v29, s[0:3], 0 offen offset:64
	;; [unrolled: 1-line block ×5, first 2 shown]
	v_lshl_add_u32 v68, v23, 3, 0xd0
	s_clause 0x7
	buffer_load_dword v58, v19, s[0:3], 0 offen
	buffer_load_dword v59, v19, s[0:3], 0 offen offset:4
	buffer_load_dword v60, v68, s[0:3], 0 offen offset:64
	;; [unrolled: 1-line block ×7, first 2 shown]
	v_lshl_add_u32 v29, v26, 3, 0xd0
	s_clause 0x7
	buffer_load_dword v66, v18, s[0:3], 0 offen
	buffer_load_dword v67, v18, s[0:3], 0 offen offset:4
	buffer_load_dword v18, v29, s[0:3], 0 offen offset:64
	;; [unrolled: 1-line block ×7, first 2 shown]
	s_mov_b32 s4, exec_lo
	s_waitcnt vmcnt(20)
	v_add_f64 v[27:28], v[27:28], v[54:55]
	s_waitcnt vmcnt(16)
	v_add_f64 v[20:21], v[20:21], v[56:57]
	;; [unrolled: 2-line block ×3, first 2 shown]
	v_add_f64 v[27:28], v[27:28], v[58:59]
	v_add_f64 v[20:21], v[20:21], v[60:61]
	s_waitcnt vmcnt(6)
	v_add_f64 v[27:28], v[27:28], v[66:67]
	s_waitcnt vmcnt(4)
	;; [unrolled: 2-line block ×3, first 2 shown]
	v_add_f64 v[20:21], v[54:55], v[96:97]
	v_fma_f64 v[27:28], 0x3fd00000, v[27:28], -v[0:1]
	v_fma_f64 v[18:19], 0x3fd00000, v[18:19], -v[4:5]
	s_waitcnt vmcnt(0)
	v_add_f64 v[54:55], v[20:21], v[94:95]
	v_mul_f64 v[20:21], v[32:33], v[27:28]
	v_mul_f64 v[18:19], v[6:7], v[18:19]
	v_fma_f64 v[27:28], 0x3fd00000, v[54:55], -v[8:9]
	ds_write2_b64 v69, v[20:21], v[18:19] offset0:1 offset1:11
	ds_write_b64 v69, v[27:28] offset:168
	v_and_b32_sdwa v27, v25, v92 dst_sel:DWORD dst_unused:UNUSED_PAD src0_sel:BYTE_0 src1_sel:DWORD
                                        ; implicit-def: $vgpr25
	v_cmpx_lt_i32_e32 1, v27
	s_xor_b32 s4, exec_lo, s4
	s_cbranch_execz .LBB1_149
; %bb.144:                              ;   in Loop: Header=BB1_127 Depth=1
	s_mov_b32 s11, exec_lo
	v_cmpx_lt_i32_e32 2, v27
	s_xor_b32 s11, exec_lo, s11
; %bb.145:                              ;   in Loop: Header=BB1_127 Depth=1
                                        ; implicit-def: $vgpr23
; %bb.146:                              ;   in Loop: Header=BB1_127 Depth=1
	s_or_saveexec_b32 s11, s11
	v_mov_b32_e32 v25, v26
	s_xor_b32 exec_lo, exec_lo, s11
; %bb.147:                              ;   in Loop: Header=BB1_127 Depth=1
	v_mov_b32_e32 v25, v23
	v_mov_b32_e32 v22, v26
; %bb.148:                              ;   in Loop: Header=BB1_127 Depth=1
	s_or_b32 exec_lo, exec_lo, s11
                                        ; implicit-def: $vgpr24
                                        ; implicit-def: $vgpr23
                                        ; implicit-def: $vgpr27
.LBB1_149:                              ;   in Loop: Header=BB1_127 Depth=1
	s_andn2_saveexec_b32 s4, s4
	s_cbranch_execz .LBB1_153
; %bb.150:                              ;   in Loop: Header=BB1_127 Depth=1
	s_mov_b32 s11, exec_lo
	v_cmpx_eq_u32_e32 1, v27
; %bb.151:                              ;   in Loop: Header=BB1_127 Depth=1
	v_mov_b32_e32 v22, v24
	v_mov_b32_e32 v24, v23
; %bb.152:                              ;   in Loop: Header=BB1_127 Depth=1
	s_or_b32 exec_lo, exec_lo, s11
	v_mov_b32_e32 v25, v22
	v_mov_b32_e32 v22, v24
.LBB1_153:                              ;   in Loop: Header=BB1_127 Depth=1
	s_or_b32 exec_lo, exec_lo, s4
	v_lshl_add_u32 v25, v25, 3, 0xd0
	v_lshl_add_u32 v22, v22, 3, 0xd0
	s_mov_b32 s4, 0
	s_mov_b32 s11, exec_lo
                                        ; implicit-def: $vgpr63
	s_clause 0xb
	buffer_load_dword v24, v25, s[0:3], 0 offen offset:68
	buffer_load_dword v26, v25, s[0:3], 0 offen offset:128
	;; [unrolled: 1-line block ×3, first 2 shown]
	buffer_load_dword v28, v25, s[0:3], 0 offen
	buffer_load_dword v29, v25, s[0:3], 0 offen offset:4
	buffer_load_dword v54, v22, s[0:3], 0 offen
	buffer_load_dword v55, v22, s[0:3], 0 offen offset:4
	buffer_load_dword v57, v22, s[0:3], 0 offen offset:68
	;; [unrolled: 1-line block ×6, first 2 shown]
	s_waitcnt vmcnt(1)
	v_add_f64 v[26:27], v[26:27], -v[8:9]
	v_add_f64 v[22:23], v[23:24], -v[4:5]
	;; [unrolled: 1-line block ×5, first 2 shown]
	v_mul_f64 v[59:60], v[6:7], v[22:23]
	v_mul_f64 v[57:58], v[32:33], v[24:25]
	;; [unrolled: 1-line block ×4, first 2 shown]
	s_waitcnt vmcnt(0)
	v_add_f64 v[28:29], v[61:62], -v[8:9]
                                        ; implicit-def: $vgpr55_vgpr56
	ds_write2_b64 v69, v[57:58], v[22:23] offset1:2
	ds_write2_b64 v69, v[59:60], v[24:25] offset0:10 offset1:12
	ds_write2_b64 v69, v[26:27], v[28:29] offset0:20 offset1:22
	v_cmpx_ngt_f64_e32 1.0, v[59:60]
	s_xor_b32 s11, exec_lo, s11
	s_cbranch_execz .LBB1_157
; %bb.154:                              ;   in Loop: Header=BB1_127 Depth=1
	v_mov_b32_e32 v63, 9
	s_mov_b32 s12, exec_lo
                                        ; implicit-def: $vgpr55_vgpr56
	v_cmpx_gt_f64_e32 1.0, v[24:25]
	s_xor_b32 s12, exec_lo, s12
	s_cbranch_execz .LBB1_156
; %bb.155:                              ;   in Loop: Header=BB1_127 Depth=1
	v_add_f64 v[54:55], v[59:60], -v[24:25]
	v_add_f64 v[59:60], -v[24:25], 1.0
	v_add_f64 v[57:58], v[57:58], -v[22:23]
	s_mov_b32 s4, exec_lo
	v_div_scale_f64 v[61:62], null, v[54:55], v[54:55], v[59:60]
	v_div_scale_f64 v[67:68], vcc_lo, v[59:60], v[54:55], v[59:60]
	v_rcp_f64_e32 v[63:64], v[61:62]
	v_fma_f64 v[65:66], -v[61:62], v[63:64], 1.0
	v_fma_f64 v[63:64], v[63:64], v[65:66], v[63:64]
	v_fma_f64 v[65:66], -v[61:62], v[63:64], 1.0
	v_fma_f64 v[63:64], v[63:64], v[65:66], v[63:64]
	v_mul_f64 v[65:66], v[67:68], v[63:64]
	v_fma_f64 v[61:62], -v[61:62], v[65:66], v[67:68]
	v_div_fmas_f64 v[61:62], v[61:62], v[63:64], v[65:66]
	v_mov_b32_e32 v63, 8
	v_div_fixup_f64 v[55:56], v[61:62], v[54:55], v[59:60]
	v_mov_b32_e32 v54, v93
	v_fma_f64 v[57:58], v[57:58], v[55:56], v[22:23]
	ds_write2_b64 v69, v[57:58], v[53:54] offset0:9 offset1:19
.LBB1_156:                              ;   in Loop: Header=BB1_127 Depth=1
	s_or_b32 exec_lo, exec_lo, s12
	s_and_b32 s4, s4, exec_lo
                                        ; implicit-def: $vgpr57_vgpr58
                                        ; implicit-def: $vgpr59_vgpr60
.LBB1_157:                              ;   in Loop: Header=BB1_127 Depth=1
	s_or_saveexec_b32 s11, s11
	v_mov_b32_e32 v62, v29
	v_mov_b32_e32 v64, 9
	;; [unrolled: 1-line block ×3, first 2 shown]
	s_xor_b32 exec_lo, exec_lo, s11
	s_cbranch_execz .LBB1_161
; %bb.158:                              ;   in Loop: Header=BB1_127 Depth=1
	v_mov_b32_e32 v64, 8
	v_mov_b32_e32 v63, 8
	s_mov_b32 s13, s4
	s_mov_b32 s12, exec_lo
	ds_write2_b64 v69, v[57:58], v[59:60] offset0:9 offset1:19
	ds_write_b64 v69, v[26:27] offset:232
                                        ; implicit-def: $vgpr55_vgpr56
	v_cmpx_le_f64_e32 1.0, v[24:25]
	s_cbranch_execz .LBB1_160
; %bb.159:                              ;   in Loop: Header=BB1_127 Depth=1
	v_add_f64 v[54:55], v[24:25], -v[59:60]
	v_add_f64 v[59:60], -v[59:60], 1.0
	v_mov_b32_e32 v63, 7
	s_or_b32 s13, s4, exec_lo
	v_div_scale_f64 v[61:62], null, v[54:55], v[54:55], v[59:60]
	v_div_scale_f64 v[94:95], vcc_lo, v[59:60], v[54:55], v[59:60]
	v_rcp_f64_e32 v[65:66], v[61:62]
	v_fma_f64 v[67:68], -v[61:62], v[65:66], 1.0
	v_fma_f64 v[65:66], v[65:66], v[67:68], v[65:66]
	v_fma_f64 v[67:68], -v[61:62], v[65:66], 1.0
	v_fma_f64 v[65:66], v[65:66], v[67:68], v[65:66]
	v_mul_f64 v[67:68], v[94:95], v[65:66]
	v_fma_f64 v[61:62], -v[61:62], v[67:68], v[94:95]
	v_div_fmas_f64 v[61:62], v[61:62], v[65:66], v[67:68]
	v_div_fixup_f64 v[55:56], v[61:62], v[54:55], v[59:60]
	v_add_f64 v[59:60], v[22:23], -v[57:58]
	v_mov_b32_e32 v54, v93
	v_fma_f64 v[57:58], v[59:60], v[55:56], v[57:58]
	ds_write2_b64 v69, v[57:58], v[53:54] offset0:8 offset1:18
.LBB1_160:                              ;   in Loop: Header=BB1_127 Depth=1
	s_or_b32 exec_lo, exec_lo, s12
	v_mov_b32_e32 v62, v27
	v_mov_b32_e32 v61, v26
	;; [unrolled: 1-line block ×4, first 2 shown]
	s_andn2_b32 s4, s4, exec_lo
	s_and_b32 s12, s13, exec_lo
	s_or_b32 s4, s4, s12
.LBB1_161:                              ;   in Loop: Header=BB1_127 Depth=1
	s_or_b32 exec_lo, exec_lo, s11
	s_and_saveexec_b32 s11, s4
	s_cbranch_execz .LBB1_163
; %bb.162:                              ;   in Loop: Header=BB1_127 Depth=1
	v_add_f64 v[26:27], v[26:27], -v[61:62]
	v_lshl_add_u32 v28, v64, 3, v69
	v_fma_f64 v[26:27], v[55:56], v[26:27], v[61:62]
	ds_write_b64 v28, v[26:27] offset:160
.LBB1_163:                              ;   in Loop: Header=BB1_127 Depth=1
	s_or_b32 exec_lo, exec_lo, s11
	s_mov_b32 s4, 0
	s_mov_b32 s11, exec_lo
                                        ; implicit-def: $vgpr26_vgpr27
                                        ; implicit-def: $vgpr28_vgpr29
	v_cmpx_ngt_f64_e32 1.0, v[24:25]
	s_xor_b32 s11, exec_lo, s11
	s_cbranch_execz .LBB1_167
; %bb.164:                              ;   in Loop: Header=BB1_127 Depth=1
	s_mov_b32 s12, exec_lo
                                        ; implicit-def: $vgpr26_vgpr27
                                        ; implicit-def: $vgpr28_vgpr29
	v_cmpx_gt_f64_e32 1.0, v[18:19]
	s_cbranch_execz .LBB1_166
; %bb.165:                              ;   in Loop: Header=BB1_127 Depth=1
	v_add_f64 v[24:25], v[24:25], -v[18:19]
	v_add_f64 v[26:27], -v[18:19], 1.0
	v_add_f64 v[22:23], v[22:23], -v[20:21]
	s_mov_b32 s4, exec_lo
	v_div_scale_f64 v[28:29], null, v[24:25], v[24:25], v[26:27]
	v_div_scale_f64 v[58:59], vcc_lo, v[26:27], v[24:25], v[26:27]
	v_rcp_f64_e32 v[54:55], v[28:29]
	v_fma_f64 v[56:57], -v[28:29], v[54:55], 1.0
	v_fma_f64 v[54:55], v[54:55], v[56:57], v[54:55]
	v_fma_f64 v[56:57], -v[28:29], v[54:55], 1.0
	v_fma_f64 v[54:55], v[54:55], v[56:57], v[54:55]
	v_mul_f64 v[56:57], v[58:59], v[54:55]
	v_fma_f64 v[28:29], -v[28:29], v[56:57], v[58:59]
	v_div_fmas_f64 v[28:29], v[28:29], v[54:55], v[56:57]
	v_mov_b32_e32 v54, v93
	v_div_fixup_f64 v[26:27], v[28:29], v[24:25], v[26:27]
	v_fma_f64 v[28:29], v[26:27], v[22:23], v[20:21]
	v_lshl_add_u32 v20, v63, 3, v69
	ds_write_b64 v20, v[53:54] offset:80
.LBB1_166:                              ;   in Loop: Header=BB1_127 Depth=1
	s_or_b32 exec_lo, exec_lo, s12
	s_and_b32 s4, s4, exec_lo
                                        ; implicit-def: $vgpr22_vgpr23
                                        ; implicit-def: $vgpr24_vgpr25
.LBB1_167:                              ;   in Loop: Header=BB1_127 Depth=1
	s_or_saveexec_b32 s11, s11
	v_mov_b32_e32 v21, 2
	v_mov_b32_e32 v20, -1
	v_mov_b32_e32 v54, v84
	v_mov_b32_e32 v55, v63
	s_xor_b32 exec_lo, exec_lo, s11
	s_cbranch_execz .LBB1_171
; %bb.168:                              ;   in Loop: Header=BB1_127 Depth=1
	v_lshl_add_u32 v55, v63, 3, v69
	s_mov_b32 s13, s4
	s_mov_b32 s12, exec_lo
                                        ; implicit-def: $vgpr26_vgpr27
                                        ; implicit-def: $vgpr28_vgpr29
	ds_write2_b64 v55, v[22:23], v[24:25] offset1:10
	ds_read2_b64 v[18:21], v69 offset0:11 offset1:22
	s_waitcnt lgkmcnt(0)
	ds_write_b64 v55, v[20:21] offset:160
	v_cmpx_le_f64_e32 1.0, v[18:19]
	s_cbranch_execz .LBB1_170
; %bb.169:                              ;   in Loop: Header=BB1_127 Depth=1
	ds_read_b64 v[24:25], v69 offset:96
	ds_read2_b64 v[20:23], v69 offset0:1 offset1:2
	v_mov_b32_e32 v54, v93
	s_or_b32 s13, s4, exec_lo
	ds_write_b64 v55, v[53:54] offset:72
	s_waitcnt lgkmcnt(2)
	v_add_f64 v[26:27], v[18:19], -v[24:25]
	v_add_f64 v[24:25], -v[24:25], 1.0
	s_waitcnt lgkmcnt(1)
	v_add_f64 v[20:21], v[20:21], -v[22:23]
	v_div_scale_f64 v[28:29], null, v[26:27], v[26:27], v[24:25]
	v_div_scale_f64 v[60:61], vcc_lo, v[24:25], v[26:27], v[24:25]
	v_rcp_f64_e32 v[56:57], v[28:29]
	v_fma_f64 v[58:59], -v[28:29], v[56:57], 1.0
	v_fma_f64 v[56:57], v[56:57], v[58:59], v[56:57]
	v_fma_f64 v[58:59], -v[28:29], v[56:57], 1.0
	v_fma_f64 v[56:57], v[56:57], v[58:59], v[56:57]
	v_mul_f64 v[58:59], v[60:61], v[56:57]
	v_fma_f64 v[28:29], -v[28:29], v[58:59], v[60:61]
	v_div_fmas_f64 v[28:29], v[28:29], v[56:57], v[58:59]
	v_div_fixup_f64 v[26:27], v[28:29], v[26:27], v[24:25]
	v_fma_f64 v[28:29], v[26:27], v[20:21], v[22:23]
.LBB1_170:                              ;   in Loop: Header=BB1_127 Depth=1
	s_or_b32 exec_lo, exec_lo, s12
	v_add_nc_u32_e32 v55, -1, v63
	v_mov_b32_e32 v21, 1
	v_mov_b32_e32 v20, -2
	v_mov_b32_e32 v54, v85
	s_andn2_b32 s4, s4, exec_lo
	s_and_b32 s12, s13, exec_lo
	s_or_b32 s4, s4, s12
.LBB1_171:                              ;   in Loop: Header=BB1_127 Depth=1
	s_or_b32 exec_lo, exec_lo, s11
	s_and_saveexec_b32 s11, s4
	s_cbranch_execz .LBB1_173
; %bb.172:                              ;   in Loop: Header=BB1_127 Depth=1
	v_lshl_add_u32 v25, v55, 3, v69
	v_lshl_add_u32 v18, v21, 3, v69
	v_add_nc_u32_e32 v55, v20, v63
	ds_write_b64 v25, v[28:29]
	ds_read_b64 v[21:22], v54
	ds_read_b64 v[23:24], v18 offset:160
	ds_read_b64 v[18:19], v69 offset:88
	s_waitcnt lgkmcnt(1)
	v_add_f64 v[23:24], v[23:24], -v[21:22]
	v_fma_f64 v[21:22], v[26:27], v[23:24], v[21:22]
	ds_write_b64 v25, v[21:22] offset:160
.LBB1_173:                              ;   in Loop: Header=BB1_127 Depth=1
	s_or_b32 exec_lo, exec_lo, s11
	s_mov_b32 s4, 0
	s_mov_b32 s11, exec_lo
                                        ; implicit-def: $vgpr20_vgpr21
                                        ; implicit-def: $vgpr22_vgpr23
	s_waitcnt lgkmcnt(1)
	v_cmpx_ngt_f64_e32 1.0, v[18:19]
	s_xor_b32 s11, exec_lo, s11
	s_cbranch_execz .LBB1_177
; %bb.174:                              ;   in Loop: Header=BB1_127 Depth=1
	ds_read_b64 v[24:25], v69 offset:80
	s_mov_b32 s12, exec_lo
                                        ; implicit-def: $vgpr20_vgpr21
                                        ; implicit-def: $vgpr22_vgpr23
	s_waitcnt lgkmcnt(0)
	v_cmpx_gt_f64_e32 1.0, v[24:25]
	s_cbranch_execz .LBB1_176
; %bb.175:                              ;   in Loop: Header=BB1_127 Depth=1
	v_add_f64 v[18:19], v[18:19], -v[24:25]
	v_add_f64 v[20:21], -v[24:25], 1.0
	v_mov_b32_e32 v54, v93
	s_mov_b32 s4, exec_lo
	v_div_scale_f64 v[22:23], null, v[18:19], v[18:19], v[20:21]
	v_div_scale_f64 v[28:29], vcc_lo, v[20:21], v[18:19], v[20:21]
	v_rcp_f64_e32 v[24:25], v[22:23]
	v_fma_f64 v[26:27], -v[22:23], v[24:25], 1.0
	v_fma_f64 v[24:25], v[24:25], v[26:27], v[24:25]
	v_fma_f64 v[26:27], -v[22:23], v[24:25], 1.0
	v_fma_f64 v[24:25], v[24:25], v[26:27], v[24:25]
	v_mul_f64 v[26:27], v[28:29], v[24:25]
	v_fma_f64 v[22:23], -v[22:23], v[26:27], v[28:29]
	v_div_fmas_f64 v[26:27], v[22:23], v[24:25], v[26:27]
	ds_read2_b64 v[22:25], v69 offset1:1
	v_div_fixup_f64 v[20:21], v[26:27], v[18:19], v[20:21]
	s_waitcnt lgkmcnt(0)
	v_add_f64 v[18:19], v[24:25], -v[22:23]
	v_fma_f64 v[22:23], v[20:21], v[18:19], v[22:23]
	v_lshl_add_u32 v18, v55, 3, v69
	ds_write_b64 v18, v[53:54] offset:80
.LBB1_176:                              ;   in Loop: Header=BB1_127 Depth=1
	s_or_b32 exec_lo, exec_lo, s12
	s_and_b32 s4, s4, exec_lo
                                        ; implicit-def: $vgpr18_vgpr19
.LBB1_177:                              ;   in Loop: Header=BB1_127 Depth=1
	s_or_saveexec_b32 s11, s11
	v_mov_b32_e32 v26, 1
	v_mov_b32_e32 v25, -1
	v_mov_b32_e32 v27, v83
	v_mov_b32_e32 v24, v55
	s_xor_b32 exec_lo, exec_lo, s11
	s_cbranch_execz .LBB1_181
; %bb.178:                              ;   in Loop: Header=BB1_127 Depth=1
	ds_read_b64 v[20:21], v69 offset:8
	v_lshl_add_u32 v24, v55, 3, v69
	s_mov_b32 s13, s4
	s_mov_b32 s12, exec_lo
                                        ; implicit-def: $vgpr22_vgpr23
	s_waitcnt lgkmcnt(0)
	ds_write2_b64 v24, v[20:21], v[18:19] offset1:10
	ds_read2_b64 v[18:21], v69 offset0:10 offset1:21
	s_waitcnt lgkmcnt(0)
	ds_write_b64 v24, v[20:21] offset:160
                                        ; implicit-def: $vgpr20_vgpr21
	v_cmpx_le_f64_e32 1.0, v[18:19]
	s_cbranch_execz .LBB1_180
; %bb.179:                              ;   in Loop: Header=BB1_127 Depth=1
	ds_read_b64 v[20:21], v69 offset:88
	ds_read2_b64 v[25:28], v69 offset1:1
	v_mov_b32_e32 v54, v93
	s_or_b32 s13, s4, exec_lo
	ds_write_b64 v24, v[53:54] offset:72
	s_waitcnt lgkmcnt(2)
	v_add_f64 v[18:19], v[18:19], -v[20:21]
	v_add_f64 v[20:21], -v[20:21], 1.0
	v_div_scale_f64 v[22:23], null, v[18:19], v[18:19], v[20:21]
	v_div_scale_f64 v[60:61], vcc_lo, v[20:21], v[18:19], v[20:21]
	v_rcp_f64_e32 v[56:57], v[22:23]
	v_fma_f64 v[58:59], -v[22:23], v[56:57], 1.0
	v_fma_f64 v[56:57], v[56:57], v[58:59], v[56:57]
	v_fma_f64 v[58:59], -v[22:23], v[56:57], 1.0
	v_fma_f64 v[56:57], v[56:57], v[58:59], v[56:57]
	v_mul_f64 v[58:59], v[60:61], v[56:57]
	v_fma_f64 v[22:23], -v[22:23], v[58:59], v[60:61]
	v_div_fmas_f64 v[22:23], v[22:23], v[56:57], v[58:59]
	v_div_fixup_f64 v[20:21], v[22:23], v[18:19], v[20:21]
	s_waitcnt lgkmcnt(1)
	v_add_f64 v[18:19], v[25:26], -v[27:28]
	v_fma_f64 v[22:23], v[20:21], v[18:19], v[27:28]
.LBB1_180:                              ;   in Loop: Header=BB1_127 Depth=1
	s_or_b32 exec_lo, exec_lo, s12
	v_add_nc_u32_e32 v24, -1, v55
	v_mov_b32_e32 v26, 0
	v_mov_b32_e32 v25, -2
	v_mov_b32_e32 v27, v84
	s_andn2_b32 s4, s4, exec_lo
	s_and_b32 s12, s13, exec_lo
	s_or_b32 s4, s4, s12
.LBB1_181:                              ;   in Loop: Header=BB1_127 Depth=1
	s_or_b32 exec_lo, exec_lo, s11
	s_and_saveexec_b32 s11, s4
	s_cbranch_execz .LBB1_183
; %bb.182:                              ;   in Loop: Header=BB1_127 Depth=1
	v_lshl_add_u32 v28, v24, 3, v69
	v_lshl_add_u32 v24, v26, 3, v69
	ds_write_b64 v28, v[22:23]
	ds_read_b64 v[18:19], v27
	ds_read_b64 v[22:23], v24 offset:160
	v_add_nc_u32_e32 v24, v25, v55
	s_waitcnt lgkmcnt(0)
	v_add_f64 v[22:23], v[22:23], -v[18:19]
	v_fma_f64 v[18:19], v[20:21], v[22:23], v[18:19]
	ds_write_b64 v28, v[18:19] offset:160
.LBB1_183:                              ;   in Loop: Header=BB1_127 Depth=1
	s_or_b32 exec_lo, exec_lo, s11
	v_add_nc_u32_e32 v18, 1, v24
	v_mov_b32_e32 v28, 0
	s_mov_b32 s4, exec_lo
	v_cmpx_ne_u32_e32 10, v18
	s_cbranch_execz .LBB1_197
; %bb.184:                              ;   in Loop: Header=BB1_127 Depth=1
	v_add_co_u32 v20, s11, v24, -9
	v_mov_b32_e32 v19, v53
	v_lshl_add_u32 v29, v24, 3, v86
	v_add_co_ci_u32_e64 v21, null, 0, -1, s11
	v_mov_b32_e32 v28, 0
	s_mov_b32 s11, 0
	v_mov_b32_e32 v22, 9
	v_mov_b32_e32 v23, 0
	s_branch .LBB1_186
.LBB1_185:                              ;   in Loop: Header=BB1_186 Depth=2
	s_or_b32 exec_lo, exec_lo, s13
	v_add_co_u32 v20, vcc_lo, v20, 1
	v_add_co_ci_u32_e64 v21, null, 0, v21, vcc_lo
	v_add_co_u32 v24, vcc_lo, v18, 1
	v_add_co_ci_u32_e64 v25, null, 0, v19, vcc_lo
	v_cmp_eq_u64_e32 vcc_lo, 0, v[20:21]
	v_mov_b32_e32 v23, v19
	v_mov_b32_e32 v22, v18
	;; [unrolled: 1-line block ×3, first 2 shown]
	v_add_nc_u32_e32 v29, 8, v29
	v_mov_b32_e32 v19, v25
	s_or_b32 s11, vcc_lo, s11
	s_andn2_b32 exec_lo, exec_lo, s11
	s_cbranch_execz .LBB1_196
.LBB1_186:                              ;   Parent Loop BB1_127 Depth=1
                                        ; =>  This Inner Loop Header: Depth=2
	v_lshl_add_u32 v55, v22, 3, v69
	s_mov_b32 s12, 0
	s_mov_b32 s13, exec_lo
                                        ; implicit-def: $vgpr22_vgpr23
	ds_read_b64 v[24:25], v55 offset:80
	s_waitcnt lgkmcnt(0)
	v_cmpx_le_f64_e32 0, v[24:25]
	s_xor_b32 s13, exec_lo, s13
	s_cbranch_execnz .LBB1_189
; %bb.187:                              ;   in Loop: Header=BB1_186 Depth=2
	s_andn2_saveexec_b32 s13, s13
	s_cbranch_execnz .LBB1_192
.LBB1_188:                              ;   in Loop: Header=BB1_186 Depth=2
	s_or_b32 exec_lo, exec_lo, s13
	s_and_saveexec_b32 s13, s12
	s_cbranch_execz .LBB1_185
	s_branch .LBB1_195
.LBB1_189:                              ;   in Loop: Header=BB1_186 Depth=2
	v_lshl_add_u32 v26, v28, 3, v69
	s_mov_b32 s14, exec_lo
	ds_write_b64 v26, v[24:25] offset:80
	ds_read_b64 v[22:23], v55
	s_waitcnt lgkmcnt(0)
	ds_write_b64 v26, v[22:23]
	ds_read_b64 v[22:23], v55 offset:160
	s_waitcnt lgkmcnt(0)
	ds_write_b64 v26, v[22:23] offset:160
	ds_read_b64 v[24:25], v29 offset:80
                                        ; implicit-def: $vgpr22_vgpr23
	s_waitcnt lgkmcnt(0)
	v_cmpx_gt_f64_e32 0, v[24:25]
	s_cbranch_execz .LBB1_191
; %bb.190:                              ;   in Loop: Header=BB1_186 Depth=2
	ds_read_b64 v[22:23], v55 offset:80
	v_add_f64 v[56:57], -v[24:25], 0
	v_mov_b32_e32 v54, v53
	s_mov_b32 s12, exec_lo
	ds_write_b64 v26, v[53:54] offset:88
	s_waitcnt lgkmcnt(1)
	v_add_f64 v[22:23], v[22:23], -v[24:25]
	v_div_scale_f64 v[24:25], null, v[22:23], v[22:23], v[56:57]
	v_div_scale_f64 v[62:63], vcc_lo, v[56:57], v[22:23], v[56:57]
	v_rcp_f64_e32 v[58:59], v[24:25]
	v_fma_f64 v[60:61], -v[24:25], v[58:59], 1.0
	v_fma_f64 v[58:59], v[58:59], v[60:61], v[58:59]
	v_fma_f64 v[60:61], -v[24:25], v[58:59], 1.0
	v_fma_f64 v[58:59], v[58:59], v[60:61], v[58:59]
	v_mul_f64 v[60:61], v[62:63], v[58:59]
	v_fma_f64 v[24:25], -v[24:25], v[60:61], v[62:63]
	ds_read_b64 v[62:63], v29
	v_div_fmas_f64 v[24:25], v[24:25], v[58:59], v[60:61]
	ds_read_b64 v[58:59], v55
	s_waitcnt lgkmcnt(0)
	v_add_f64 v[58:59], v[58:59], -v[62:63]
	v_div_fixup_f64 v[22:23], v[24:25], v[22:23], v[56:57]
	v_fma_f64 v[24:25], v[22:23], v[58:59], v[62:63]
	ds_write_b64 v26, v[24:25] offset:8
	ds_read_b64 v[24:25], v29 offset:160
	ds_read_b64 v[26:27], v55 offset:160
	s_waitcnt lgkmcnt(0)
	v_add_f64 v[26:27], v[26:27], -v[24:25]
	v_fma_f64 v[22:23], v[22:23], v[26:27], v[24:25]
.LBB1_191:                              ;   in Loop: Header=BB1_186 Depth=2
	s_or_b32 exec_lo, exec_lo, s14
	v_add_nc_u32_e32 v28, 1, v28
	s_and_b32 s12, s12, exec_lo
                                        ; implicit-def: $vgpr24_vgpr25
                                        ; implicit-def: $vgpr55
	s_andn2_saveexec_b32 s13, s13
	s_cbranch_execz .LBB1_188
.LBB1_192:                              ;   in Loop: Header=BB1_186 Depth=2
	ds_read_b64 v[26:27], v29 offset:80
	s_mov_b32 s18, s12
	s_mov_b32 s14, exec_lo
                                        ; implicit-def: $vgpr22_vgpr23
	s_waitcnt lgkmcnt(0)
	v_cmpx_le_f64_e32 0, v[26:27]
	s_cbranch_execz .LBB1_194
; %bb.193:                              ;   in Loop: Header=BB1_186 Depth=2
	v_add_f64 v[22:23], v[26:27], -v[24:25]
	v_add_f64 v[24:25], -v[24:25], 0
	v_lshl_add_u32 v62, v28, 3, v69
	v_mov_b32_e32 v54, v53
	s_or_b32 s18, s12, exec_lo
	ds_write_b64 v62, v[53:54] offset:80
	v_div_scale_f64 v[26:27], null, v[22:23], v[22:23], v[24:25]
	v_div_scale_f64 v[60:61], vcc_lo, v[24:25], v[22:23], v[24:25]
	v_rcp_f64_e32 v[56:57], v[26:27]
	v_fma_f64 v[58:59], -v[26:27], v[56:57], 1.0
	v_fma_f64 v[56:57], v[56:57], v[58:59], v[56:57]
	v_fma_f64 v[58:59], -v[26:27], v[56:57], 1.0
	v_fma_f64 v[56:57], v[56:57], v[58:59], v[56:57]
	v_mul_f64 v[58:59], v[60:61], v[56:57]
	v_fma_f64 v[26:27], -v[26:27], v[58:59], v[60:61]
	ds_read_b64 v[60:61], v55
	v_div_fmas_f64 v[26:27], v[26:27], v[56:57], v[58:59]
	ds_read_b64 v[56:57], v29
	s_waitcnt lgkmcnt(0)
	v_add_f64 v[56:57], v[56:57], -v[60:61]
	v_div_fixup_f64 v[22:23], v[26:27], v[22:23], v[24:25]
	v_fma_f64 v[24:25], v[22:23], v[56:57], v[60:61]
	ds_write_b64 v62, v[24:25]
	ds_read_b64 v[24:25], v55 offset:160
	ds_read_b64 v[26:27], v29 offset:160
	s_waitcnt lgkmcnt(0)
	v_add_f64 v[26:27], v[26:27], -v[24:25]
	v_fma_f64 v[22:23], v[22:23], v[26:27], v[24:25]
.LBB1_194:                              ;   in Loop: Header=BB1_186 Depth=2
	s_or_b32 exec_lo, exec_lo, s14
	s_andn2_b32 s12, s12, exec_lo
	s_and_b32 s14, s18, exec_lo
	s_or_b32 s12, s12, s14
	s_or_b32 exec_lo, exec_lo, s13
	s_and_saveexec_b32 s13, s12
	s_cbranch_execz .LBB1_185
.LBB1_195:                              ;   in Loop: Header=BB1_186 Depth=2
	v_lshl_add_u32 v24, v28, 3, v69
	v_add_nc_u32_e32 v28, 1, v28
	ds_write_b64 v24, v[22:23] offset:160
	s_branch .LBB1_185
.LBB1_196:                              ;   in Loop: Header=BB1_127 Depth=1
	s_or_b32 exec_lo, exec_lo, s11
.LBB1_197:                              ;   in Loop: Header=BB1_127 Depth=1
	s_or_b32 exec_lo, exec_lo, s4
	v_mov_b32_e32 v18, 10
	v_mov_b32_e32 v19, 0
	s_mov_b32 s4, exec_lo
	v_cmpx_ne_u32_e32 0, v28
	s_cbranch_execz .LBB1_211
; %bb.198:                              ;   in Loop: Header=BB1_127 Depth=1
	v_add_nc_u32_e32 v18, -1, v28
	v_lshl_add_u32 v29, v28, 3, v87
	v_mov_b32_e32 v55, 9
	s_mov_b32 s11, 0
	v_mov_b32_e32 v22, 0
	v_ashrrev_i32_e32 v19, 31, v18
	v_add_co_u32 v20, vcc_lo, v18, 1
	v_mov_b32_e32 v23, 0
	v_add_co_ci_u32_e64 v21, null, 0, v19, vcc_lo
	s_branch .LBB1_200
.LBB1_199:                              ;   in Loop: Header=BB1_200 Depth=2
	s_or_b32 exec_lo, exec_lo, s13
	v_add_co_u32 v20, vcc_lo, v20, -1
	v_add_co_ci_u32_e64 v21, null, -1, v21, vcc_lo
	v_add_co_u32 v24, vcc_lo, v18, -1
	v_add_co_ci_u32_e64 v25, null, -1, v19, vcc_lo
	v_cmp_eq_u64_e32 vcc_lo, 0, v[20:21]
	v_mov_b32_e32 v23, v19
	v_mov_b32_e32 v22, v18
	;; [unrolled: 1-line block ×3, first 2 shown]
	v_add_nc_u32_e32 v29, -8, v29
	v_mov_b32_e32 v55, v27
	v_mov_b32_e32 v19, v25
	s_or_b32 s11, vcc_lo, s11
	s_andn2_b32 exec_lo, exec_lo, s11
	s_cbranch_execz .LBB1_210
.LBB1_200:                              ;   Parent Loop BB1_127 Depth=1
                                        ; =>  This Inner Loop Header: Depth=2
	v_lshl_add_u32 v56, v22, 3, v69
	v_add_nc_u32_e32 v54, 0xffffff60, v29
	s_mov_b32 s12, 0
	s_mov_b32 s13, exec_lo
                                        ; implicit-def: $vgpr23_vgpr24
	ds_read_b64 v[25:26], v56
	s_waitcnt lgkmcnt(0)
	v_cmpx_ngt_f64_e32 1.0, v[25:26]
	s_xor_b32 s13, exec_lo, s13
	s_cbranch_execz .LBB1_204
; %bb.201:                              ;   in Loop: Header=BB1_200 Depth=2
	ds_read_b64 v[27:28], v54
	s_mov_b32 s14, exec_lo
                                        ; implicit-def: $vgpr23_vgpr24
	s_waitcnt lgkmcnt(0)
	v_cmpx_gt_f64_e32 1.0, v[27:28]
	s_xor_b32 s14, exec_lo, s14
	s_cbranch_execz .LBB1_203
; %bb.202:                              ;   in Loop: Header=BB1_200 Depth=2
	v_add_f64 v[23:24], v[25:26], -v[27:28]
	v_add_f64 v[25:26], -v[27:28], 1.0
	v_mov_b32_e32 v54, v93
	s_mov_b32 s12, exec_lo
	v_div_scale_f64 v[27:28], null, v[23:24], v[23:24], v[25:26]
	v_div_scale_f64 v[61:62], vcc_lo, v[25:26], v[23:24], v[25:26]
	v_rcp_f64_e32 v[57:58], v[27:28]
	v_fma_f64 v[59:60], -v[27:28], v[57:58], 1.0
	v_fma_f64 v[57:58], v[57:58], v[59:60], v[57:58]
	v_fma_f64 v[59:60], -v[27:28], v[57:58], 1.0
	v_fma_f64 v[57:58], v[57:58], v[59:60], v[57:58]
	v_mul_f64 v[59:60], v[61:62], v[57:58]
	v_fma_f64 v[27:28], -v[27:28], v[59:60], v[61:62]
	v_lshl_add_u32 v61, v55, 3, v69
	v_add_nc_u32_e32 v62, 0xffffffb0, v29
	ds_write_b64 v61, v[53:54]
	v_div_fmas_f64 v[27:28], v[27:28], v[57:58], v[59:60]
	ds_read_b64 v[57:58], v62
	ds_read_b64 v[59:60], v56 offset:80
	v_div_fixup_f64 v[23:24], v[27:28], v[23:24], v[25:26]
	s_waitcnt lgkmcnt(0)
	v_add_f64 v[25:26], v[59:60], -v[57:58]
	v_fma_f64 v[25:26], v[23:24], v[25:26], v[57:58]
	ds_write_b64 v61, v[25:26] offset:80
.LBB1_203:                              ;   in Loop: Header=BB1_200 Depth=2
	s_or_b32 exec_lo, exec_lo, s14
	s_and_b32 s12, s12, exec_lo
                                        ; implicit-def: $vgpr56
                                        ; implicit-def: $vgpr25_vgpr26
                                        ; implicit-def: $vgpr54
.LBB1_204:                              ;   in Loop: Header=BB1_200 Depth=2
	s_or_saveexec_b32 s13, s13
	v_mov_b32_e32 v28, -1
	v_mov_b32_e32 v27, v55
	v_mov_b32_e32 v57, v29
	s_xor_b32 exec_lo, exec_lo, s13
	s_cbranch_execz .LBB1_208
; %bb.205:                              ;   in Loop: Header=BB1_200 Depth=2
	v_lshl_add_u32 v27, v55, 3, v69
	s_mov_b32 s18, s12
	s_mov_b32 s14, exec_lo
	ds_write_b64 v27, v[25:26]
	ds_read_b64 v[22:23], v56 offset:80
	s_waitcnt lgkmcnt(0)
	ds_write_b64 v27, v[22:23] offset:80
	ds_read_b64 v[22:23], v56 offset:160
	s_waitcnt lgkmcnt(0)
	ds_write_b64 v27, v[22:23] offset:160
	ds_read_b64 v[25:26], v54
                                        ; implicit-def: $vgpr23_vgpr24
                                        ; implicit-def: $vgpr22
	s_waitcnt lgkmcnt(0)
	v_cmpx_le_f64_e32 1.0, v[25:26]
	s_cbranch_execz .LBB1_207
; %bb.206:                              ;   in Loop: Header=BB1_200 Depth=2
	ds_read_b64 v[22:23], v56
	v_mov_b32_e32 v54, v93
	v_add_nc_u32_e32 v28, 0xffffffb0, v29
	s_or_b32 s18, s12, exec_lo
	s_waitcnt lgkmcnt(0)
	v_add_f64 v[24:25], v[25:26], -v[22:23]
	v_add_f64 v[22:23], -v[22:23], 1.0
	v_add_nc_u32_e32 v26, -8, v27
	ds_write_b64 v26, v[53:54]
	v_div_scale_f64 v[57:58], null, v[24:25], v[24:25], v[22:23]
	v_div_scale_f64 v[63:64], vcc_lo, v[22:23], v[24:25], v[22:23]
	v_rcp_f64_e32 v[59:60], v[57:58]
	v_fma_f64 v[61:62], -v[57:58], v[59:60], 1.0
	v_fma_f64 v[59:60], v[59:60], v[61:62], v[59:60]
	v_fma_f64 v[61:62], -v[57:58], v[59:60], 1.0
	v_fma_f64 v[59:60], v[59:60], v[61:62], v[59:60]
	v_mul_f64 v[61:62], v[63:64], v[59:60]
	v_fma_f64 v[57:58], -v[57:58], v[61:62], v[63:64]
	v_div_fmas_f64 v[57:58], v[57:58], v[59:60], v[61:62]
	ds_read_b64 v[59:60], v56 offset:80
	ds_read_b64 v[61:62], v28
	v_div_fixup_f64 v[23:24], v[57:58], v[24:25], v[22:23]
	s_waitcnt lgkmcnt(0)
	v_add_f64 v[25:26], v[61:62], -v[59:60]
	v_mov_b32_e32 v22, v18
	v_fma_f64 v[25:26], v[23:24], v[25:26], v[59:60]
	ds_write_b64 v27, v[25:26] offset:72
.LBB1_207:                              ;   in Loop: Header=BB1_200 Depth=2
	s_or_b32 exec_lo, exec_lo, s14
	v_add_nc_u32_e32 v57, 0xa0, v56
	v_add_nc_u32_e32 v27, -1, v55
	v_mov_b32_e32 v28, -2
	s_andn2_b32 s12, s12, exec_lo
	s_and_b32 s14, s18, exec_lo
	s_or_b32 s12, s12, s14
.LBB1_208:                              ;   in Loop: Header=BB1_200 Depth=2
	s_or_b32 exec_lo, exec_lo, s13
	s_and_saveexec_b32 s13, s12
	s_cbranch_execz .LBB1_199
; %bb.209:                              ;   in Loop: Header=BB1_200 Depth=2
	v_lshl_add_u32 v22, v22, 3, v69
	ds_read_b64 v[25:26], v57
	ds_read_b64 v[56:57], v22 offset:160
	s_waitcnt lgkmcnt(0)
	v_add_f64 v[56:57], v[56:57], -v[25:26]
	v_fma_f64 v[22:23], v[23:24], v[56:57], v[25:26]
	v_lshl_add_u32 v24, v27, 3, v69
	v_add_nc_u32_e32 v27, v28, v55
	ds_write_b64 v24, v[22:23] offset:160
	s_branch .LBB1_199
.LBB1_210:                              ;   in Loop: Header=BB1_127 Depth=1
	s_or_b32 exec_lo, exec_lo, s11
	v_add_nc_u32_e32 v18, 1, v27
	v_ashrrev_i32_e32 v19, 31, v18
.LBB1_211:                              ;   in Loop: Header=BB1_127 Depth=1
	s_or_b32 exec_lo, exec_lo, s4
	v_mov_b32_e32 v55, 0
	s_mov_b32 s4, exec_lo
	v_cmpx_ne_u64_e32 10, v[18:19]
	s_cbranch_execz .LBB1_225
; %bb.212:                              ;   in Loop: Header=BB1_127 Depth=1
	v_add_co_u32 v20, vcc_lo, v18, -10
	v_lshl_add_u32 v28, v18, 3, v69
	v_add_co_ci_u32_e64 v21, null, -1, v19, vcc_lo
	v_mov_b32_e32 v55, 0
	s_mov_b32 s11, 0
	v_mov_b32_e32 v22, 9
	v_mov_b32_e32 v23, 0
	s_branch .LBB1_214
.LBB1_213:                              ;   in Loop: Header=BB1_214 Depth=2
	s_or_b32 exec_lo, exec_lo, s13
	v_add_co_u32 v20, vcc_lo, v20, 1
	v_add_co_ci_u32_e64 v21, null, 0, v21, vcc_lo
	v_add_co_u32 v24, vcc_lo, v18, 1
	v_add_co_ci_u32_e64 v25, null, 0, v19, vcc_lo
	v_cmp_eq_u64_e32 vcc_lo, 0, v[20:21]
	v_mov_b32_e32 v23, v19
	v_mov_b32_e32 v22, v18
	v_mov_b32_e32 v18, v24
	v_add_nc_u32_e32 v28, 8, v28
	v_mov_b32_e32 v19, v25
	s_or_b32 s11, vcc_lo, s11
	s_andn2_b32 exec_lo, exec_lo, s11
	s_cbranch_execz .LBB1_224
.LBB1_214:                              ;   Parent Loop BB1_127 Depth=1
                                        ; =>  This Inner Loop Header: Depth=2
	v_lshl_add_u32 v29, v22, 3, v69
	s_mov_b32 s12, 0
	s_mov_b32 s13, exec_lo
                                        ; implicit-def: $vgpr22_vgpr23
	ds_read_b64 v[24:25], v29
	s_waitcnt lgkmcnt(0)
	v_cmpx_le_f64_e32 0, v[24:25]
	s_xor_b32 s13, exec_lo, s13
	s_cbranch_execnz .LBB1_217
; %bb.215:                              ;   in Loop: Header=BB1_214 Depth=2
	s_andn2_saveexec_b32 s13, s13
	s_cbranch_execnz .LBB1_220
.LBB1_216:                              ;   in Loop: Header=BB1_214 Depth=2
	s_or_b32 exec_lo, exec_lo, s13
	s_and_saveexec_b32 s13, s12
	s_cbranch_execz .LBB1_213
	s_branch .LBB1_223
.LBB1_217:                              ;   in Loop: Header=BB1_214 Depth=2
	v_lshl_add_u32 v26, v55, 3, v69
	s_mov_b32 s14, exec_lo
	ds_write_b64 v26, v[24:25]
	ds_read_b64 v[22:23], v29 offset:80
	s_waitcnt lgkmcnt(0)
	ds_write_b64 v26, v[22:23] offset:80
	ds_read_b64 v[22:23], v29 offset:160
	s_waitcnt lgkmcnt(0)
	ds_write_b64 v26, v[22:23] offset:160
	ds_read_b64 v[24:25], v28
                                        ; implicit-def: $vgpr22_vgpr23
	s_waitcnt lgkmcnt(0)
	v_cmpx_gt_f64_e32 0, v[24:25]
	s_cbranch_execz .LBB1_219
; %bb.218:                              ;   in Loop: Header=BB1_214 Depth=2
	ds_read_b64 v[22:23], v29
	v_add_f64 v[56:57], -v[24:25], 0
	v_mov_b32_e32 v54, v53
	s_mov_b32 s12, exec_lo
	ds_write_b64 v26, v[53:54] offset:8
	s_waitcnt lgkmcnt(1)
	v_add_f64 v[22:23], v[22:23], -v[24:25]
	v_div_scale_f64 v[24:25], null, v[22:23], v[22:23], v[56:57]
	v_div_scale_f64 v[62:63], vcc_lo, v[56:57], v[22:23], v[56:57]
	v_rcp_f64_e32 v[58:59], v[24:25]
	v_fma_f64 v[60:61], -v[24:25], v[58:59], 1.0
	v_fma_f64 v[58:59], v[58:59], v[60:61], v[58:59]
	v_fma_f64 v[60:61], -v[24:25], v[58:59], 1.0
	v_fma_f64 v[58:59], v[58:59], v[60:61], v[58:59]
	v_mul_f64 v[60:61], v[62:63], v[58:59]
	v_fma_f64 v[24:25], -v[24:25], v[60:61], v[62:63]
	ds_read_b64 v[62:63], v28 offset:80
	v_div_fmas_f64 v[24:25], v[24:25], v[58:59], v[60:61]
	ds_read_b64 v[58:59], v29 offset:80
	s_waitcnt lgkmcnt(0)
	v_add_f64 v[58:59], v[58:59], -v[62:63]
	v_div_fixup_f64 v[22:23], v[24:25], v[22:23], v[56:57]
	v_fma_f64 v[24:25], v[22:23], v[58:59], v[62:63]
	ds_write_b64 v26, v[24:25] offset:88
	ds_read_b64 v[24:25], v28 offset:160
	ds_read_b64 v[26:27], v29 offset:160
	s_waitcnt lgkmcnt(0)
	v_add_f64 v[26:27], v[26:27], -v[24:25]
	v_fma_f64 v[22:23], v[22:23], v[26:27], v[24:25]
.LBB1_219:                              ;   in Loop: Header=BB1_214 Depth=2
	s_or_b32 exec_lo, exec_lo, s14
	v_add_nc_u32_e32 v55, 1, v55
	s_and_b32 s12, s12, exec_lo
                                        ; implicit-def: $vgpr24_vgpr25
                                        ; implicit-def: $vgpr29
	s_andn2_saveexec_b32 s13, s13
	s_cbranch_execz .LBB1_216
.LBB1_220:                              ;   in Loop: Header=BB1_214 Depth=2
	ds_read_b64 v[26:27], v28
	s_mov_b32 s18, s12
	s_mov_b32 s14, exec_lo
                                        ; implicit-def: $vgpr22_vgpr23
	s_waitcnt lgkmcnt(0)
	v_cmpx_le_f64_e32 0, v[26:27]
	s_cbranch_execz .LBB1_222
; %bb.221:                              ;   in Loop: Header=BB1_214 Depth=2
	v_add_f64 v[22:23], v[26:27], -v[24:25]
	v_add_f64 v[24:25], -v[24:25], 0
	v_lshl_add_u32 v62, v55, 3, v69
	v_mov_b32_e32 v54, v53
	s_or_b32 s18, s12, exec_lo
	ds_write_b64 v62, v[53:54]
	v_div_scale_f64 v[26:27], null, v[22:23], v[22:23], v[24:25]
	v_div_scale_f64 v[60:61], vcc_lo, v[24:25], v[22:23], v[24:25]
	v_rcp_f64_e32 v[56:57], v[26:27]
	v_fma_f64 v[58:59], -v[26:27], v[56:57], 1.0
	v_fma_f64 v[56:57], v[56:57], v[58:59], v[56:57]
	v_fma_f64 v[58:59], -v[26:27], v[56:57], 1.0
	v_fma_f64 v[56:57], v[56:57], v[58:59], v[56:57]
	v_mul_f64 v[58:59], v[60:61], v[56:57]
	v_fma_f64 v[26:27], -v[26:27], v[58:59], v[60:61]
	ds_read_b64 v[60:61], v29 offset:80
	v_div_fmas_f64 v[26:27], v[26:27], v[56:57], v[58:59]
	ds_read_b64 v[56:57], v28 offset:80
	s_waitcnt lgkmcnt(0)
	v_add_f64 v[56:57], v[56:57], -v[60:61]
	v_div_fixup_f64 v[22:23], v[26:27], v[22:23], v[24:25]
	v_fma_f64 v[24:25], v[22:23], v[56:57], v[60:61]
	ds_write_b64 v62, v[24:25] offset:80
	ds_read_b64 v[24:25], v29 offset:160
	ds_read_b64 v[26:27], v28 offset:160
	s_waitcnt lgkmcnt(0)
	v_add_f64 v[26:27], v[26:27], -v[24:25]
	v_fma_f64 v[22:23], v[22:23], v[26:27], v[24:25]
.LBB1_222:                              ;   in Loop: Header=BB1_214 Depth=2
	s_or_b32 exec_lo, exec_lo, s14
	s_andn2_b32 s12, s12, exec_lo
	s_and_b32 s14, s18, exec_lo
	s_or_b32 s12, s12, s14
	s_or_b32 exec_lo, exec_lo, s13
	s_and_saveexec_b32 s13, s12
	s_cbranch_execz .LBB1_213
.LBB1_223:                              ;   in Loop: Header=BB1_214 Depth=2
	v_lshl_add_u32 v24, v55, 3, v69
	v_add_nc_u32_e32 v55, 1, v55
	ds_write_b64 v24, v[22:23] offset:160
	s_branch .LBB1_213
.LBB1_224:                              ;   in Loop: Header=BB1_127 Depth=1
	s_or_b32 exec_lo, exec_lo, s11
.LBB1_225:                              ;   in Loop: Header=BB1_127 Depth=1
	s_or_b32 exec_lo, exec_lo, s4
	v_ashrrev_i32_e32 v56, 31, v55
	v_cmp_lt_i32_e64 s4, 0, v55
	s_and_saveexec_b32 s11, s4
	s_cbranch_execz .LBB1_228
; %bb.226:                              ;   in Loop: Header=BB1_127 Depth=1
	v_mov_b32_e32 v18, v55
	v_mov_b32_e32 v20, v69
	;; [unrolled: 1-line block ×3, first 2 shown]
	s_mov_b32 s12, 16
	s_mov_b32 s13, 0
	.p2align	6
.LBB1_227:                              ;   Parent Loop BB1_127 Depth=1
                                        ; =>  This Inner Loop Header: Depth=2
	ds_read2_b64 v[21:24], v20 offset1:10
	ds_read_b64 v[25:26], v20 offset:160
	v_add_co_u32 v18, vcc_lo, v18, -1
	v_add_co_ci_u32_e64 v19, null, -1, v19, vcc_lo
	v_mov_b32_e32 v27, s12
	v_add_nc_u32_e32 v20, 8, v20
	s_add_i32 s12, s12, 8
	v_cmp_eq_u64_e32 vcc_lo, 0, v[18:19]
	s_waitcnt lgkmcnt(1)
	buffer_store_dword v22, v27, s[0:3], 0 offen offset:4
	buffer_store_dword v21, v27, s[0:3], 0 offen
	buffer_store_dword v24, v27, s[0:3], 0 offen offset:68
	buffer_store_dword v23, v27, s[0:3], 0 offen offset:64
	s_waitcnt lgkmcnt(0)
	buffer_store_dword v26, v27, s[0:3], 0 offen offset:132
	buffer_store_dword v25, v27, s[0:3], 0 offen offset:128
	s_or_b32 s13, vcc_lo, s13
	s_andn2_b32 exec_lo, exec_lo, s13
	s_cbranch_execnz .LBB1_227
.LBB1_228:                              ;   in Loop: Header=BB1_127 Depth=1
	s_or_b32 exec_lo, exec_lo, s11
	v_sub_co_u32 v57, s11, v55, 1
	v_mov_b32_e32 v28, 9
	v_lshl_add_u32 v54, v55, 3, v88
	s_xor_b32 s11, s11, -1
	v_ashrrev_i32_e32 v58, 31, v57
	s_and_saveexec_b32 s12, s11
	s_cbranch_execz .LBB1_242
; %bb.229:                              ;   in Loop: Header=BB1_127 Depth=1
	v_add_co_u32 v18, vcc_lo, v57, 1
	v_mov_b32_e32 v20, v57
	v_lshl_add_u32 v29, v55, 3, v88
	v_add_co_ci_u32_e64 v19, null, 0, v58, vcc_lo
	v_mov_b32_e32 v28, 9
	v_mov_b32_e32 v21, v58
	s_mov_b32 s13, 0
	v_mov_b32_e32 v22, 0
	v_mov_b32_e32 v23, 0
	s_branch .LBB1_231
.LBB1_230:                              ;   in Loop: Header=BB1_231 Depth=2
	s_or_b32 exec_lo, exec_lo, s18
	v_add_co_u32 v18, vcc_lo, v18, -1
	v_add_co_ci_u32_e64 v19, null, -1, v19, vcc_lo
	v_add_co_u32 v24, vcc_lo, v20, -1
	v_add_co_ci_u32_e64 v25, null, -1, v21, vcc_lo
	v_cmp_eq_u64_e32 vcc_lo, 0, v[18:19]
	v_mov_b32_e32 v23, v21
	v_mov_b32_e32 v22, v20
	;; [unrolled: 1-line block ×3, first 2 shown]
	v_add_nc_u32_e32 v29, -8, v29
	v_mov_b32_e32 v21, v25
	s_or_b32 s13, vcc_lo, s13
	s_andn2_b32 exec_lo, exec_lo, s13
	s_cbranch_execz .LBB1_241
.LBB1_231:                              ;   Parent Loop BB1_127 Depth=1
                                        ; =>  This Inner Loop Header: Depth=2
	v_lshl_add_u32 v59, v22, 3, v69
	s_mov_b32 s14, 0
	s_mov_b32 s18, exec_lo
                                        ; implicit-def: $vgpr22_vgpr23
	ds_read_b64 v[24:25], v59 offset:160
	s_waitcnt lgkmcnt(0)
	v_cmpx_ge_f64_e32 v[24:25], v[34:35]
	s_xor_b32 s18, exec_lo, s18
	s_cbranch_execnz .LBB1_234
; %bb.232:                              ;   in Loop: Header=BB1_231 Depth=2
	s_andn2_saveexec_b32 s18, s18
	s_cbranch_execnz .LBB1_237
.LBB1_233:                              ;   in Loop: Header=BB1_231 Depth=2
	s_or_b32 exec_lo, exec_lo, s18
	s_and_saveexec_b32 s18, s14
	s_cbranch_execz .LBB1_230
	s_branch .LBB1_240
.LBB1_234:                              ;   in Loop: Header=BB1_231 Depth=2
	v_lshl_add_u32 v26, v28, 3, v69
	s_mov_b32 s19, exec_lo
	ds_write_b64 v26, v[24:25] offset:160
	ds_read_b64 v[22:23], v59
	s_waitcnt lgkmcnt(0)
	ds_write_b64 v26, v[22:23]
	ds_read_b64 v[22:23], v59 offset:80
	s_waitcnt lgkmcnt(0)
	ds_write_b64 v26, v[22:23] offset:80
	ds_read_b64 v[24:25], v29 offset:160
                                        ; implicit-def: $vgpr22_vgpr23
	s_waitcnt lgkmcnt(0)
	v_cmpx_lt_f64_e32 v[24:25], v[34:35]
	s_cbranch_execz .LBB1_236
; %bb.235:                              ;   in Loop: Header=BB1_231 Depth=2
	ds_read_b64 v[22:23], v59 offset:160
	v_add_f64 v[60:61], v[34:35], -v[24:25]
	ds_write_b64 v26, v[34:35] offset:152
	v_add_nc_u32_e32 v26, -8, v26
	s_mov_b32 s14, exec_lo
	s_waitcnt lgkmcnt(1)
	v_add_f64 v[22:23], v[22:23], -v[24:25]
	v_div_scale_f64 v[24:25], null, v[22:23], v[22:23], v[60:61]
	v_div_scale_f64 v[66:67], vcc_lo, v[60:61], v[22:23], v[60:61]
	v_rcp_f64_e32 v[62:63], v[24:25]
	v_fma_f64 v[64:65], -v[24:25], v[62:63], 1.0
	v_fma_f64 v[62:63], v[62:63], v[64:65], v[62:63]
	v_fma_f64 v[64:65], -v[24:25], v[62:63], 1.0
	v_fma_f64 v[62:63], v[62:63], v[64:65], v[62:63]
	v_mul_f64 v[64:65], v[66:67], v[62:63]
	v_fma_f64 v[24:25], -v[24:25], v[64:65], v[66:67]
	ds_read_b64 v[66:67], v29
	v_div_fmas_f64 v[24:25], v[24:25], v[62:63], v[64:65]
	ds_read_b64 v[62:63], v59
	s_waitcnt lgkmcnt(0)
	v_add_f64 v[62:63], v[62:63], -v[66:67]
	v_div_fixup_f64 v[22:23], v[24:25], v[22:23], v[60:61]
	v_fma_f64 v[24:25], v[22:23], v[62:63], v[66:67]
	ds_write_b64 v26, v[24:25]
	ds_read_b64 v[24:25], v29 offset:80
	ds_read_b64 v[26:27], v59 offset:80
	s_waitcnt lgkmcnt(0)
	v_add_f64 v[26:27], v[26:27], -v[24:25]
	v_fma_f64 v[22:23], v[22:23], v[26:27], v[24:25]
.LBB1_236:                              ;   in Loop: Header=BB1_231 Depth=2
	s_or_b32 exec_lo, exec_lo, s19
	v_add_nc_u32_e32 v28, -1, v28
	s_and_b32 s14, s14, exec_lo
                                        ; implicit-def: $vgpr24_vgpr25
                                        ; implicit-def: $vgpr59
	s_andn2_saveexec_b32 s18, s18
	s_cbranch_execz .LBB1_233
.LBB1_237:                              ;   in Loop: Header=BB1_231 Depth=2
	ds_read_b64 v[26:27], v29 offset:160
	s_mov_b32 s26, s14
	s_mov_b32 s19, exec_lo
                                        ; implicit-def: $vgpr22_vgpr23
	s_waitcnt lgkmcnt(0)
	v_cmpx_ge_f64_e32 v[26:27], v[34:35]
	s_cbranch_execz .LBB1_239
; %bb.238:                              ;   in Loop: Header=BB1_231 Depth=2
	v_add_f64 v[22:23], v[26:27], -v[24:25]
	v_add_f64 v[24:25], v[34:35], -v[24:25]
	v_lshl_add_u32 v66, v28, 3, v69
	s_or_b32 s26, s14, exec_lo
	ds_write_b64 v66, v[34:35] offset:160
	v_div_scale_f64 v[26:27], null, v[22:23], v[22:23], v[24:25]
	v_div_scale_f64 v[64:65], vcc_lo, v[24:25], v[22:23], v[24:25]
	v_rcp_f64_e32 v[60:61], v[26:27]
	v_fma_f64 v[62:63], -v[26:27], v[60:61], 1.0
	v_fma_f64 v[60:61], v[60:61], v[62:63], v[60:61]
	v_fma_f64 v[62:63], -v[26:27], v[60:61], 1.0
	v_fma_f64 v[60:61], v[60:61], v[62:63], v[60:61]
	v_mul_f64 v[62:63], v[64:65], v[60:61]
	v_fma_f64 v[26:27], -v[26:27], v[62:63], v[64:65]
	ds_read_b64 v[64:65], v59
	v_div_fmas_f64 v[26:27], v[26:27], v[60:61], v[62:63]
	ds_read_b64 v[60:61], v29
	s_waitcnt lgkmcnt(0)
	v_add_f64 v[60:61], v[60:61], -v[64:65]
	v_div_fixup_f64 v[22:23], v[26:27], v[22:23], v[24:25]
	v_fma_f64 v[24:25], v[22:23], v[60:61], v[64:65]
	ds_write_b64 v66, v[24:25]
	ds_read_b64 v[24:25], v59 offset:80
	ds_read_b64 v[26:27], v29 offset:80
	s_waitcnt lgkmcnt(0)
	v_add_f64 v[26:27], v[26:27], -v[24:25]
	v_fma_f64 v[22:23], v[22:23], v[26:27], v[24:25]
.LBB1_239:                              ;   in Loop: Header=BB1_231 Depth=2
	s_or_b32 exec_lo, exec_lo, s19
	s_andn2_b32 s14, s14, exec_lo
	s_and_b32 s19, s26, exec_lo
	s_or_b32 s14, s14, s19
	s_or_b32 exec_lo, exec_lo, s18
	s_and_saveexec_b32 s18, s14
	s_cbranch_execz .LBB1_230
.LBB1_240:                              ;   in Loop: Header=BB1_231 Depth=2
	v_lshl_add_u32 v24, v28, 3, v69
	v_add_nc_u32_e32 v28, -1, v28
	ds_write_b64 v24, v[22:23] offset:80
	s_branch .LBB1_230
.LBB1_241:                              ;   in Loop: Header=BB1_127 Depth=1
	s_or_b32 exec_lo, exec_lo, s13
.LBB1_242:                              ;   in Loop: Header=BB1_127 Depth=1
	s_or_b32 exec_lo, exec_lo, s12
	s_mov_b32 s12, exec_lo
	v_cmpx_gt_i32_e32 7, v28
	s_cbranch_execz .LBB1_248
; %bb.243:                              ;   in Loop: Header=BB1_127 Depth=1
	v_sub_nc_u32_e32 v59, 9, v28
	v_lshlrev_b32_e32 v94, 3, v28
	v_mov_b32_e32 v60, v53
	s_mov_b32 s13, 0
	v_mov_b32_e32 v18, v59
	v_add_nc_u32_e32 v20, v89, v94
	v_mov_b32_e32 v19, v60
.LBB1_244:                              ;   Parent Loop BB1_127 Depth=1
                                        ; =>  This Inner Loop Header: Depth=2
	v_add_co_u32 v18, vcc_lo, v18, -1
	v_add_co_ci_u32_e64 v19, null, -1, v19, vcc_lo
	ds_write_b64 v20, v[34:35]
	v_add_nc_u32_e32 v20, 8, v20
	v_cmp_eq_u64_e32 vcc_lo, 0, v[18:19]
	s_or_b32 s13, vcc_lo, s13
	s_andn2_b32 exec_lo, exec_lo, s13
	s_cbranch_execnz .LBB1_244
; %bb.245:                              ;   in Loop: Header=BB1_127 Depth=1
	s_or_b32 exec_lo, exec_lo, s13
	v_lshl_add_u32 v26, v28, 3, v69
	v_add_co_u32 v59, s13, v59, -2
	v_mov_b32_e32 v61, 0
	v_mov_b32_e32 v63, 0
	ds_read2_b64 v[18:21], v26 offset0:1 offset1:2
	ds_read2_b64 v[22:25], v26 offset0:11 offset1:12
	;; [unrolled: 1-line block ×3, first 2 shown]
	v_mov_b32_e32 v65, 0
	v_mov_b32_e32 v67, 0
	v_add_co_ci_u32_e64 v60, null, 0, -1, s13
	v_mov_b32_e32 v62, 0
	v_mov_b32_e32 v64, 0
	v_mov_b32_e32 v66, 0
	v_mov_b32_e32 v68, 0
	v_add_nc_u32_e32 v94, v90, v94
	s_mov_b32 s13, 0
.LBB1_246:                              ;   Parent Loop BB1_127 Depth=1
                                        ; =>  This Inner Loop Header: Depth=2
	ds_read2_b64 v[95:98], v94 offset1:10
	s_waitcnt lgkmcnt(1)
	v_add_f64 v[99:100], v[26:27], v[28:29]
	ds_read_b64 v[105:106], v94 offset:160
	v_add_f64 v[107:108], v[18:19], v[20:21]
	v_add_f64 v[109:110], v[18:19], -v[20:21]
	v_add_co_u32 v59, vcc_lo, v59, -1
	v_add_co_ci_u32_e64 v60, null, -1, v60, vcc_lo
	v_add_nc_u32_e32 v94, 8, v94
	v_cmp_eq_u64_e32 vcc_lo, 0, v[59:60]
	s_or_b32 s13, vcc_lo, s13
	s_waitcnt lgkmcnt(1)
	v_add_f64 v[101:102], v[24:25], v[97:98]
	v_add_f64 v[103:104], v[20:21], -v[95:96]
	v_add_f64 v[24:25], v[22:23], v[24:25]
	s_waitcnt lgkmcnt(0)
	v_add_f64 v[28:29], v[28:29], v[105:106]
	v_mul_f64 v[111:112], v[99:100], 0.5
	v_add_f64 v[20:21], v[20:21], v[95:96]
	v_add_f64 v[113:114], v[26:27], v[105:106]
	;; [unrolled: 1-line block ×3, first 2 shown]
	v_add_f64 v[117:118], v[95:96], -v[18:19]
	v_fma_f64 v[107:108], v[36:37], v[107:108], v[0:1]
	v_fma_f64 v[99:100], v[99:100], 0.5, 0
	v_mul_f64 v[103:104], v[103:104], v[101:102]
	v_fma_f64 v[119:120], v[38:39], v[24:25], v[4:5]
	v_mul_f64 v[121:122], v[28:29], 0.5
	v_fma_f64 v[123:124], v[111:112], 0.5, v[8:9]
	v_fma_f64 v[20:21], v[36:37], v[20:21], v[0:1]
	v_fma_f64 v[101:102], v[38:39], v[101:102], v[4:5]
	;; [unrolled: 1-line block ×3, first 2 shown]
	v_fma_f64 v[28:29], v[28:29], 0.5, v[99:100]
	v_fma_f64 v[24:25], v[109:110], v[24:25], v[103:104]
	v_add_f64 v[103:104], v[18:19], v[95:96]
	v_mul_f64 v[109:110], v[113:114], 0.5
	v_fma_f64 v[119:120], v[111:112], v[119:120], 0
	v_fma_f64 v[125:126], v[121:122], 0.5, v[8:9]
	v_fma_f64 v[111:112], v[111:112], v[123:124], 0
	v_fma_f64 v[20:21], v[20:21], v[121:122], v[107:108]
	v_fma_f64 v[28:29], v[113:114], 0.5, v[28:29]
	v_fma_f64 v[24:25], v[117:118], v[115:116], v[24:25]
	v_fma_f64 v[103:104], v[36:37], v[103:104], v[0:1]
	;; [unrolled: 1-line block ×3, first 2 shown]
	v_fma_f64 v[99:100], v[109:110], 0.5, v[8:9]
	v_fma_f64 v[101:102], v[121:122], v[101:102], v[119:120]
	v_fma_f64 v[107:108], v[121:122], v[125:126], v[111:112]
	v_mul_f64 v[24:25], v[24:25], 0.5
	v_fma_f64 v[20:21], v[103:104], v[109:110], v[20:21]
	v_fma_f64 v[101:102], v[109:110], v[115:116], v[101:102]
	;; [unrolled: 1-line block ×3, first 2 shown]
	v_mul_f64 v[24:25], v[24:25], s[8:9]
	v_fma_f64 v[61:62], v[28:29], v[24:25], v[61:62]
	v_fma_f64 v[63:64], v[24:25], v[20:21], v[63:64]
	;; [unrolled: 1-line block ×4, first 2 shown]
	v_mov_b32_e32 v20, v95
	v_mov_b32_e32 v24, v97
	;; [unrolled: 1-line block ×6, first 2 shown]
	s_andn2_b32 exec_lo, exec_lo, s13
	s_cbranch_execnz .LBB1_246
; %bb.247:                              ;   in Loop: Header=BB1_127 Depth=1
	s_or_b32 exec_lo, exec_lo, s13
	v_fma_f64 v[14:15], v[2:3], v[61:62], v[14:15]
	v_fma_f64 v[16:17], v[2:3], v[63:64], v[16:17]
	;; [unrolled: 1-line block ×4, first 2 shown]
.LBB1_248:                              ;   in Loop: Header=BB1_127 Depth=1
	s_or_b32 exec_lo, exec_lo, s12
	s_and_saveexec_b32 s12, s4
	s_cbranch_execz .LBB1_251
; %bb.249:                              ;   in Loop: Header=BB1_127 Depth=1
	v_mov_b32_e32 v18, v69
	s_mov_b32 s4, 16
	s_mov_b32 s13, 0
	.p2align	6
.LBB1_250:                              ;   Parent Loop BB1_127 Depth=1
                                        ; =>  This Inner Loop Header: Depth=2
	v_mov_b32_e32 v24, s4
	v_add_co_u32 v55, vcc_lo, v55, -1
	v_add_co_ci_u32_e64 v56, null, -1, v56, vcc_lo
	s_clause 0x5
	buffer_load_dword v19, v24, s[0:3], 0 offen
	buffer_load_dword v20, v24, s[0:3], 0 offen offset:4
	buffer_load_dword v22, v24, s[0:3], 0 offen offset:68
	;; [unrolled: 1-line block ×5, first 2 shown]
	s_add_i32 s4, s4, 8
	s_waitcnt vmcnt(1)
	ds_write2_b64 v18, v[19:20], v[21:22] offset1:10
	s_waitcnt vmcnt(0)
	ds_write_b64 v18, v[23:24] offset:160
	v_cmp_eq_u64_e32 vcc_lo, 0, v[55:56]
	v_add_nc_u32_e32 v18, 8, v18
	s_or_b32 s13, vcc_lo, s13
	s_andn2_b32 exec_lo, exec_lo, s13
	s_cbranch_execnz .LBB1_250
.LBB1_251:                              ;   in Loop: Header=BB1_127 Depth=1
	s_or_b32 exec_lo, exec_lo, s12
	v_mov_b32_e32 v18, 10
	v_mov_b32_e32 v19, 0
	s_and_saveexec_b32 s4, s11
	s_cbranch_execz .LBB1_265
; %bb.252:                              ;   in Loop: Header=BB1_127 Depth=1
	v_add_co_u32 v18, vcc_lo, v57, 1
	v_add_co_ci_u32_e64 v19, null, 0, v58, vcc_lo
	v_mov_b32_e32 v27, 9
	s_mov_b32 s11, 0
	v_mov_b32_e32 v20, 0
	v_mov_b32_e32 v21, 0
	s_branch .LBB1_254
.LBB1_253:                              ;   in Loop: Header=BB1_254 Depth=2
	s_or_b32 exec_lo, exec_lo, s13
	v_add_co_u32 v18, vcc_lo, v18, -1
	v_add_co_ci_u32_e64 v19, null, -1, v19, vcc_lo
	v_add_co_u32 v22, vcc_lo, v57, -1
	v_add_co_ci_u32_e64 v23, null, -1, v58, vcc_lo
	v_cmp_eq_u64_e32 vcc_lo, 0, v[18:19]
	v_mov_b32_e32 v20, v57
	v_mov_b32_e32 v21, v58
	;; [unrolled: 1-line block ×3, first 2 shown]
	v_add_nc_u32_e32 v54, -8, v54
	v_mov_b32_e32 v27, v25
	v_mov_b32_e32 v57, v22
	s_or_b32 s11, vcc_lo, s11
	s_andn2_b32 exec_lo, exec_lo, s11
	s_cbranch_execz .LBB1_264
.LBB1_254:                              ;   Parent Loop BB1_127 Depth=1
                                        ; =>  This Inner Loop Header: Depth=2
	v_lshl_add_u32 v28, v20, 3, v69
	s_mov_b32 s12, 0
	s_mov_b32 s13, exec_lo
                                        ; implicit-def: $vgpr21_vgpr22
                                        ; implicit-def: $vgpr29
	ds_read_b64 v[23:24], v28 offset:160
	s_waitcnt lgkmcnt(0)
	v_cmpx_nlt_f64_e32 v[23:24], v[34:35]
	s_xor_b32 s13, exec_lo, s13
	s_cbranch_execz .LBB1_258
; %bb.255:                              ;   in Loop: Header=BB1_254 Depth=2
	ds_read_b64 v[25:26], v54 offset:160
	s_mov_b32 s14, exec_lo
                                        ; implicit-def: $vgpr21_vgpr22
                                        ; implicit-def: $vgpr29
	s_waitcnt lgkmcnt(0)
	v_cmpx_lt_f64_e32 v[25:26], v[34:35]
	s_xor_b32 s14, exec_lo, s14
	s_cbranch_execz .LBB1_257
; %bb.256:                              ;   in Loop: Header=BB1_254 Depth=2
	v_add_f64 v[21:22], v[23:24], -v[25:26]
	v_add_f64 v[23:24], v[34:35], -v[25:26]
	s_mov_b32 s12, exec_lo
	v_div_scale_f64 v[25:26], null, v[21:22], v[21:22], v[23:24]
	v_div_scale_f64 v[61:62], vcc_lo, v[23:24], v[21:22], v[23:24]
	v_rcp_f64_e32 v[55:56], v[25:26]
	v_fma_f64 v[59:60], -v[25:26], v[55:56], 1.0
	v_fma_f64 v[55:56], v[55:56], v[59:60], v[55:56]
	v_fma_f64 v[59:60], -v[25:26], v[55:56], 1.0
	v_fma_f64 v[55:56], v[55:56], v[59:60], v[55:56]
	v_mul_f64 v[59:60], v[61:62], v[55:56]
	v_fma_f64 v[25:26], -v[25:26], v[59:60], v[61:62]
	v_lshl_add_u32 v61, v27, 3, v69
	ds_write_b64 v61, v[34:35] offset:160
	v_div_fmas_f64 v[25:26], v[25:26], v[55:56], v[59:60]
	ds_read_b64 v[55:56], v54
	ds_read_b64 v[28:29], v28
	v_div_fixup_f64 v[21:22], v[25:26], v[21:22], v[23:24]
	s_waitcnt lgkmcnt(0)
	v_add_f64 v[23:24], v[28:29], -v[55:56]
	v_add_nc_u32_e32 v29, 0x50, v54
	v_fma_f64 v[23:24], v[21:22], v[23:24], v[55:56]
	ds_write_b64 v61, v[23:24]
.LBB1_257:                              ;   in Loop: Header=BB1_254 Depth=2
	s_or_b32 exec_lo, exec_lo, s14
	s_and_b32 s12, s12, exec_lo
                                        ; implicit-def: $vgpr28
                                        ; implicit-def: $vgpr23_vgpr24
.LBB1_258:                              ;   in Loop: Header=BB1_254 Depth=2
	s_or_saveexec_b32 s13, s13
	v_mov_b32_e32 v26, -1
	v_mov_b32_e32 v25, v27
	s_xor_b32 exec_lo, exec_lo, s13
	s_cbranch_execz .LBB1_262
; %bb.259:                              ;   in Loop: Header=BB1_254 Depth=2
	v_lshl_add_u32 v25, v27, 3, v69
	s_mov_b32 s18, s12
	s_mov_b32 s14, exec_lo
	ds_write_b64 v25, v[23:24] offset:160
	ds_read_b64 v[20:21], v28
	s_waitcnt lgkmcnt(0)
	ds_write_b64 v25, v[20:21]
	ds_read_b64 v[20:21], v28 offset:80
	s_waitcnt lgkmcnt(0)
	ds_write_b64 v25, v[20:21] offset:80
	ds_read_b64 v[23:24], v54 offset:160
                                        ; implicit-def: $vgpr21_vgpr22
                                        ; implicit-def: $vgpr20
	s_waitcnt lgkmcnt(0)
	v_cmpx_ge_f64_e32 v[23:24], v[34:35]
	s_cbranch_execz .LBB1_261
; %bb.260:                              ;   in Loop: Header=BB1_254 Depth=2
	ds_read_b64 v[20:21], v28 offset:160
	ds_write_b64 v25, v[34:35] offset:152
	v_add_nc_u32_e32 v25, -8, v25
	s_or_b32 s18, s12, exec_lo
	s_waitcnt lgkmcnt(1)
	v_add_f64 v[22:23], v[23:24], -v[20:21]
	v_add_f64 v[20:21], v[34:35], -v[20:21]
	v_div_scale_f64 v[55:56], null, v[22:23], v[22:23], v[20:21]
	v_div_scale_f64 v[63:64], vcc_lo, v[20:21], v[22:23], v[20:21]
	v_rcp_f64_e32 v[59:60], v[55:56]
	v_fma_f64 v[61:62], -v[55:56], v[59:60], 1.0
	v_fma_f64 v[59:60], v[59:60], v[61:62], v[59:60]
	v_fma_f64 v[61:62], -v[55:56], v[59:60], 1.0
	v_fma_f64 v[59:60], v[59:60], v[61:62], v[59:60]
	v_mul_f64 v[61:62], v[63:64], v[59:60]
	v_fma_f64 v[55:56], -v[55:56], v[61:62], v[63:64]
	v_div_fmas_f64 v[55:56], v[55:56], v[59:60], v[61:62]
	ds_read_b64 v[59:60], v28
	ds_read_b64 v[61:62], v54
	v_div_fixup_f64 v[21:22], v[55:56], v[22:23], v[20:21]
	s_waitcnt lgkmcnt(0)
	v_add_f64 v[23:24], v[61:62], -v[59:60]
	v_mov_b32_e32 v20, v57
	v_fma_f64 v[23:24], v[21:22], v[23:24], v[59:60]
	ds_write_b64 v25, v[23:24]
.LBB1_261:                              ;   in Loop: Header=BB1_254 Depth=2
	s_or_b32 exec_lo, exec_lo, s14
	v_add_nc_u32_e32 v29, 0x50, v28
	v_add_nc_u32_e32 v25, -1, v27
	v_mov_b32_e32 v26, -2
	s_andn2_b32 s12, s12, exec_lo
	s_and_b32 s14, s18, exec_lo
	s_or_b32 s12, s12, s14
.LBB1_262:                              ;   in Loop: Header=BB1_254 Depth=2
	s_or_b32 exec_lo, exec_lo, s13
	s_and_saveexec_b32 s13, s12
	s_cbranch_execz .LBB1_253
; %bb.263:                              ;   in Loop: Header=BB1_254 Depth=2
	v_lshl_add_u32 v20, v20, 3, v69
	ds_read_b64 v[23:24], v29
	ds_read_b64 v[28:29], v20 offset:80
	s_waitcnt lgkmcnt(0)
	v_add_f64 v[28:29], v[28:29], -v[23:24]
	v_fma_f64 v[20:21], v[21:22], v[28:29], v[23:24]
	v_lshl_add_u32 v22, v25, 3, v69
	v_add_nc_u32_e32 v25, v26, v27
	ds_write_b64 v22, v[20:21] offset:80
	s_branch .LBB1_253
.LBB1_264:                              ;   in Loop: Header=BB1_127 Depth=1
	s_or_b32 exec_lo, exec_lo, s11
	v_add_nc_u32_e32 v18, 1, v25
	v_ashrrev_i32_e32 v19, 31, v18
.LBB1_265:                              ;   in Loop: Header=BB1_127 Depth=1
	s_or_b32 exec_lo, exec_lo, s4
	v_mov_b32_e32 v55, 0
	s_mov_b32 s4, exec_lo
	v_cmpx_ne_u64_e32 10, v[18:19]
	s_cbranch_execz .LBB1_279
; %bb.266:                              ;   in Loop: Header=BB1_127 Depth=1
	v_add_co_u32 v20, vcc_lo, v18, -10
	v_lshl_add_u32 v28, v18, 3, v69
	v_add_co_ci_u32_e64 v21, null, -1, v19, vcc_lo
	v_mov_b32_e32 v55, 0
	s_mov_b32 s11, 0
	v_mov_b32_e32 v22, 9
	v_mov_b32_e32 v23, 0
	s_branch .LBB1_268
.LBB1_267:                              ;   in Loop: Header=BB1_268 Depth=2
	s_or_b32 exec_lo, exec_lo, s13
	v_add_co_u32 v20, vcc_lo, v20, 1
	v_add_co_ci_u32_e64 v21, null, 0, v21, vcc_lo
	v_add_co_u32 v24, vcc_lo, v18, 1
	v_add_co_ci_u32_e64 v25, null, 0, v19, vcc_lo
	v_cmp_eq_u64_e32 vcc_lo, 0, v[20:21]
	v_mov_b32_e32 v23, v19
	v_mov_b32_e32 v22, v18
	;; [unrolled: 1-line block ×3, first 2 shown]
	v_add_nc_u32_e32 v28, 8, v28
	v_mov_b32_e32 v19, v25
	s_or_b32 s11, vcc_lo, s11
	s_andn2_b32 exec_lo, exec_lo, s11
	s_cbranch_execz .LBB1_278
.LBB1_268:                              ;   Parent Loop BB1_127 Depth=1
                                        ; =>  This Inner Loop Header: Depth=2
	v_lshl_add_u32 v29, v22, 3, v69
	s_mov_b32 s12, 0
	s_mov_b32 s13, exec_lo
                                        ; implicit-def: $vgpr22_vgpr23
	ds_read_b64 v[24:25], v29 offset:160
	s_waitcnt lgkmcnt(0)
	v_cmpx_le_f64_e32 0, v[24:25]
	s_xor_b32 s13, exec_lo, s13
	s_cbranch_execnz .LBB1_271
; %bb.269:                              ;   in Loop: Header=BB1_268 Depth=2
	s_andn2_saveexec_b32 s13, s13
	s_cbranch_execnz .LBB1_274
.LBB1_270:                              ;   in Loop: Header=BB1_268 Depth=2
	s_or_b32 exec_lo, exec_lo, s13
	s_and_saveexec_b32 s13, s12
	s_cbranch_execz .LBB1_267
	s_branch .LBB1_277
.LBB1_271:                              ;   in Loop: Header=BB1_268 Depth=2
	v_lshl_add_u32 v26, v55, 3, v69
	s_mov_b32 s14, exec_lo
	ds_write_b64 v26, v[24:25] offset:160
	ds_read_b64 v[22:23], v29
	s_waitcnt lgkmcnt(0)
	ds_write_b64 v26, v[22:23]
	ds_read_b64 v[22:23], v29 offset:80
	s_waitcnt lgkmcnt(0)
	ds_write_b64 v26, v[22:23] offset:80
	ds_read_b64 v[24:25], v28 offset:160
                                        ; implicit-def: $vgpr22_vgpr23
	s_waitcnt lgkmcnt(0)
	v_cmpx_gt_f64_e32 0, v[24:25]
	s_cbranch_execz .LBB1_273
; %bb.272:                              ;   in Loop: Header=BB1_268 Depth=2
	ds_read_b64 v[22:23], v29 offset:160
	v_add_f64 v[56:57], -v[24:25], 0
	v_mov_b32_e32 v54, v53
	s_mov_b32 s12, exec_lo
	ds_write_b64 v26, v[53:54] offset:168
	s_waitcnt lgkmcnt(1)
	v_add_f64 v[22:23], v[22:23], -v[24:25]
	v_div_scale_f64 v[24:25], null, v[22:23], v[22:23], v[56:57]
	v_div_scale_f64 v[62:63], vcc_lo, v[56:57], v[22:23], v[56:57]
	v_rcp_f64_e32 v[58:59], v[24:25]
	v_fma_f64 v[60:61], -v[24:25], v[58:59], 1.0
	v_fma_f64 v[58:59], v[58:59], v[60:61], v[58:59]
	v_fma_f64 v[60:61], -v[24:25], v[58:59], 1.0
	v_fma_f64 v[58:59], v[58:59], v[60:61], v[58:59]
	v_mul_f64 v[60:61], v[62:63], v[58:59]
	v_fma_f64 v[24:25], -v[24:25], v[60:61], v[62:63]
	ds_read_b64 v[62:63], v28
	v_div_fmas_f64 v[24:25], v[24:25], v[58:59], v[60:61]
	ds_read_b64 v[58:59], v29
	s_waitcnt lgkmcnt(0)
	v_add_f64 v[58:59], v[58:59], -v[62:63]
	v_div_fixup_f64 v[22:23], v[24:25], v[22:23], v[56:57]
	v_fma_f64 v[24:25], v[22:23], v[58:59], v[62:63]
	ds_write_b64 v26, v[24:25] offset:8
	ds_read_b64 v[24:25], v28 offset:80
	ds_read_b64 v[26:27], v29 offset:80
	s_waitcnt lgkmcnt(0)
	v_add_f64 v[26:27], v[26:27], -v[24:25]
	v_fma_f64 v[22:23], v[22:23], v[26:27], v[24:25]
.LBB1_273:                              ;   in Loop: Header=BB1_268 Depth=2
	s_or_b32 exec_lo, exec_lo, s14
	v_add_nc_u32_e32 v55, 1, v55
	s_and_b32 s12, s12, exec_lo
                                        ; implicit-def: $vgpr24_vgpr25
                                        ; implicit-def: $vgpr29
	s_andn2_saveexec_b32 s13, s13
	s_cbranch_execz .LBB1_270
.LBB1_274:                              ;   in Loop: Header=BB1_268 Depth=2
	ds_read_b64 v[26:27], v28 offset:160
	s_mov_b32 s18, s12
	s_mov_b32 s14, exec_lo
                                        ; implicit-def: $vgpr22_vgpr23
	s_waitcnt lgkmcnt(0)
	v_cmpx_le_f64_e32 0, v[26:27]
	s_cbranch_execz .LBB1_276
; %bb.275:                              ;   in Loop: Header=BB1_268 Depth=2
	v_add_f64 v[22:23], v[26:27], -v[24:25]
	v_add_f64 v[24:25], -v[24:25], 0
	v_lshl_add_u32 v62, v55, 3, v69
	v_mov_b32_e32 v54, v53
	s_or_b32 s18, s12, exec_lo
	ds_write_b64 v62, v[53:54] offset:160
	v_div_scale_f64 v[26:27], null, v[22:23], v[22:23], v[24:25]
	v_div_scale_f64 v[60:61], vcc_lo, v[24:25], v[22:23], v[24:25]
	v_rcp_f64_e32 v[56:57], v[26:27]
	v_fma_f64 v[58:59], -v[26:27], v[56:57], 1.0
	v_fma_f64 v[56:57], v[56:57], v[58:59], v[56:57]
	v_fma_f64 v[58:59], -v[26:27], v[56:57], 1.0
	v_fma_f64 v[56:57], v[56:57], v[58:59], v[56:57]
	v_mul_f64 v[58:59], v[60:61], v[56:57]
	v_fma_f64 v[26:27], -v[26:27], v[58:59], v[60:61]
	ds_read_b64 v[60:61], v29
	v_div_fmas_f64 v[26:27], v[26:27], v[56:57], v[58:59]
	ds_read_b64 v[56:57], v28
	s_waitcnt lgkmcnt(0)
	v_add_f64 v[56:57], v[56:57], -v[60:61]
	v_div_fixup_f64 v[22:23], v[26:27], v[22:23], v[24:25]
	v_fma_f64 v[24:25], v[22:23], v[56:57], v[60:61]
	ds_write_b64 v62, v[24:25]
	ds_read_b64 v[24:25], v29 offset:80
	ds_read_b64 v[26:27], v28 offset:80
	s_waitcnt lgkmcnt(0)
	v_add_f64 v[26:27], v[26:27], -v[24:25]
	v_fma_f64 v[22:23], v[22:23], v[26:27], v[24:25]
.LBB1_276:                              ;   in Loop: Header=BB1_268 Depth=2
	s_or_b32 exec_lo, exec_lo, s14
	s_andn2_b32 s12, s12, exec_lo
	s_and_b32 s14, s18, exec_lo
	s_or_b32 s12, s12, s14
	s_or_b32 exec_lo, exec_lo, s13
	s_and_saveexec_b32 s13, s12
	s_cbranch_execz .LBB1_267
.LBB1_277:                              ;   in Loop: Header=BB1_268 Depth=2
	v_lshl_add_u32 v24, v55, 3, v69
	v_add_nc_u32_e32 v55, 1, v55
	ds_write_b64 v24, v[22:23] offset:80
	s_branch .LBB1_267
.LBB1_278:                              ;   in Loop: Header=BB1_127 Depth=1
	s_or_b32 exec_lo, exec_lo, s11
.LBB1_279:                              ;   in Loop: Header=BB1_127 Depth=1
	s_or_b32 exec_lo, exec_lo, s4
	s_mov_b32 s4, exec_lo
	v_cmpx_lt_i32_e32 2, v55
	s_cbranch_execz .LBB1_126
; %bb.280:                              ;   in Loop: Header=BB1_127 Depth=1
	ds_read2_b64 v[18:21], v69 offset1:1
	ds_read2_b64 v[22:25], v69 offset0:10 offset1:11
	ds_read2_b64 v[26:29], v69 offset0:20 offset1:21
	v_add_co_u32 v54, s11, v55, -2
	v_mov_b32_e32 v56, 0
	v_mov_b32_e32 v58, 0
	;; [unrolled: 1-line block ×4, first 2 shown]
	v_add_co_ci_u32_e64 v55, null, 0, -1, s11
	v_mov_b32_e32 v57, 0
	v_mov_b32_e32 v59, 0
	;; [unrolled: 1-line block ×5, first 2 shown]
	s_mov_b32 s11, 0
.LBB1_281:                              ;   Parent Loop BB1_127 Depth=1
                                        ; =>  This Inner Loop Header: Depth=2
	ds_read2_b64 v[65:68], v64 offset1:10
	s_waitcnt lgkmcnt(1)
	v_add_f64 v[94:95], v[26:27], v[28:29]
	ds_read_b64 v[100:101], v64 offset:160
	v_add_f64 v[102:103], v[18:19], v[20:21]
	v_add_f64 v[104:105], v[18:19], -v[20:21]
	v_add_co_u32 v54, vcc_lo, v54, -1
	v_add_co_ci_u32_e64 v55, null, -1, v55, vcc_lo
	v_add_nc_u32_e32 v64, 8, v64
	v_cmp_eq_u64_e32 vcc_lo, 0, v[54:55]
	s_or_b32 s11, vcc_lo, s11
	s_waitcnt lgkmcnt(1)
	v_add_f64 v[96:97], v[24:25], v[67:68]
	v_add_f64 v[98:99], v[20:21], -v[65:66]
	v_add_f64 v[24:25], v[22:23], v[24:25]
	s_waitcnt lgkmcnt(0)
	v_add_f64 v[28:29], v[28:29], v[100:101]
	v_mul_f64 v[106:107], v[94:95], 0.5
	v_add_f64 v[20:21], v[20:21], v[65:66]
	v_add_f64 v[108:109], v[26:27], v[100:101]
	;; [unrolled: 1-line block ×3, first 2 shown]
	v_add_f64 v[112:113], v[65:66], -v[18:19]
	v_fma_f64 v[102:103], v[36:37], v[102:103], v[0:1]
	v_fma_f64 v[94:95], v[94:95], 0.5, 0
	v_mul_f64 v[98:99], v[98:99], v[96:97]
	v_fma_f64 v[114:115], v[38:39], v[24:25], v[4:5]
	v_mul_f64 v[116:117], v[28:29], 0.5
	v_fma_f64 v[118:119], v[106:107], 0.5, v[8:9]
	v_fma_f64 v[20:21], v[36:37], v[20:21], v[0:1]
	v_fma_f64 v[96:97], v[38:39], v[96:97], v[4:5]
	;; [unrolled: 1-line block ×3, first 2 shown]
	v_fma_f64 v[28:29], v[28:29], 0.5, v[94:95]
	v_fma_f64 v[24:25], v[104:105], v[24:25], v[98:99]
	v_add_f64 v[98:99], v[18:19], v[65:66]
	v_mul_f64 v[104:105], v[108:109], 0.5
	v_fma_f64 v[114:115], v[106:107], v[114:115], 0
	v_fma_f64 v[120:121], v[116:117], 0.5, v[8:9]
	v_fma_f64 v[106:107], v[106:107], v[118:119], 0
	v_fma_f64 v[20:21], v[20:21], v[116:117], v[102:103]
	v_fma_f64 v[28:29], v[108:109], 0.5, v[28:29]
	v_fma_f64 v[24:25], v[112:113], v[110:111], v[24:25]
	v_fma_f64 v[98:99], v[36:37], v[98:99], v[0:1]
	;; [unrolled: 1-line block ×3, first 2 shown]
	v_fma_f64 v[94:95], v[104:105], 0.5, v[8:9]
	v_fma_f64 v[96:97], v[116:117], v[96:97], v[114:115]
	v_fma_f64 v[102:103], v[116:117], v[120:121], v[106:107]
	v_mul_f64 v[24:25], v[24:25], 0.5
	v_fma_f64 v[20:21], v[98:99], v[104:105], v[20:21]
	v_fma_f64 v[96:97], v[104:105], v[110:111], v[96:97]
	;; [unrolled: 1-line block ×3, first 2 shown]
	v_mul_f64 v[24:25], v[24:25], s[8:9]
	v_fma_f64 v[56:57], v[28:29], v[24:25], v[56:57]
	v_fma_f64 v[58:59], v[24:25], v[20:21], v[58:59]
	;; [unrolled: 1-line block ×4, first 2 shown]
	v_mov_b32_e32 v20, v65
	v_mov_b32_e32 v24, v67
	;; [unrolled: 1-line block ×6, first 2 shown]
	s_andn2_b32 exec_lo, exec_lo, s11
	s_cbranch_execnz .LBB1_281
; %bb.282:                              ;   in Loop: Header=BB1_127 Depth=1
	s_or_b32 exec_lo, exec_lo, s11
	v_fma_f64 v[14:15], v[2:3], v[56:57], v[14:15]
	v_fma_f64 v[16:17], v[2:3], v[58:59], v[16:17]
	;; [unrolled: 1-line block ×4, first 2 shown]
	s_branch .LBB1_126
.LBB1_283:
	s_or_b32 exec_lo, exec_lo, s10
.LBB1_284:
	s_or_b32 exec_lo, exec_lo, s5
	buffer_load_dword v18, off, s[0:3], 0 offset:4
	v_perm_b32 v24, v43, v82, 0xc0c0004
	v_perm_b32 v43, v77, v46, 0xc0c0004
	;; [unrolled: 1-line block ×5, first 2 shown]
	v_lshlrev_b16 v44, 8, v75
	v_lshlrev_b32_e32 v43, 16, v43
	v_perm_b32 v23, v49, v50, 0xc0c0004
	v_lshl_or_b32 v19, v22, 16, v21
	v_lshrrev_b32_e32 v50, 8, v21
	v_lshlrev_b16 v20, 8, v73
	v_or_b32_e32 v41, v41, v43
	v_or_b32_sdwa v43, v44, v43 dst_sel:DWORD dst_unused:UNUSED_PAD src0_sel:WORD_0 src1_sel:DWORD
	v_and_b32_e32 v47, 0xff, v47
	v_lshrrev_b32_e32 v22, 8, v22
	v_or_b32_sdwa v40, v40, v20 dst_sel:DWORD dst_unused:UNUSED_PAD src0_sel:BYTE_0 src1_sel:DWORD
	v_perm_b32 v26, v71, v48, 0xc0c0004
	v_and_b32_e32 v48, 0xff, v49
	v_lshrrev_b32_e32 v51, 8, v23
	v_perm_b32 v25, v70, v79, 0xc0c0004
	v_and_b32_e32 v54, 0xffff, v40
	v_lshrrev_b32_e32 v49, 8, v24
	v_lshlrev_b16 v27, 8, v80
	v_and_b32_e32 v46, 0xff, v70
	v_lshl_or_b32 v20, v25, 16, v24
	v_lshrrev_b32_e32 v44, 8, v54
	v_lshrrev_b32_e32 v25, 8, v25
	v_or_b32_sdwa v27, v42, v27 dst_sel:DWORD dst_unused:UNUSED_PAD src0_sel:BYTE_0 src1_sel:DWORD
	v_perm_b32 v29, v78, v76, 0xc0c0004
	v_lshl_or_b32 v23, v23, 16, v54
	v_perm_b32 v28, v45, v81, 0xc0c0004
	v_and_b32_e32 v45, 0xff, v71
	v_and_b32_e32 v55, 0xffff, v27
	v_lshlrev_b32_e32 v42, 16, v29
	v_lshrrev_b32_e32 v52, 8, v26
	v_bfe_u32 v53, v29, 8, 8
	s_mov_b32 s9, 0
	v_lshrrev_b32_e32 v54, 8, v55
	v_or_b32_e32 v42, v28, v42
	v_lshl_or_b32 v26, v26, 16, v55
	s_mov_b32 s8, exec_lo
	v_lshrrev_b32_e32 v55, 8, v42
	s_waitcnt vmcnt(0)
	v_and_b32_e32 v56, 1, v18
	v_bfe_u32 v58, v18, 1, 1
	v_and_b32_e32 v57, 2, v18
	v_bfe_u32 v60, v18, 2, 1
	v_bfe_u32 v62, v18, 3, 1
	v_cmp_ne_u32_e64 s4, 20, v56
	v_cmp_eq_u32_e32 vcc_lo, 0, v56
	v_bfe_u32 v64, v18, 4, 1
	v_and_b32_e32 v59, 4, v18
	v_and_b32_e32 v61, 8, v18
	v_cndmask_b32_e64 v21, 1, v21, s4
	v_cmp_ne_u32_e64 s4, 21, v56
	v_cndmask_b32_e32 v41, v43, v41, vcc_lo
	v_and_b32_e32 v63, 16, v18
	v_cndmask_b32_e64 v43, 1, v50, s4
	v_cmp_ne_u32_e64 s4, 22, v56
	v_lshrrev_b32_e32 v65, 8, v41
	v_lshrrev_b32_e32 v66, 24, v41
	v_lshrrev_b32_e32 v67, 16, v41
	v_lshlrev_b16 v43, 8, v43
	v_cndmask_b32_e64 v47, 1, v47, s4
	v_cmp_ne_u32_e64 s4, 23, v56
	v_or_b32_sdwa v21, v21, v43 dst_sel:DWORD dst_unused:UNUSED_PAD src0_sel:BYTE_0 src1_sel:DWORD
	v_cndmask_b32_e64 v22, 1, v22, s4
	v_cmp_ne_u32_e64 s4, 16, v56
	v_lshlrev_b16 v22, 8, v22
	v_cndmask_b32_e64 v40, 1, v40, s4
	v_cmp_ne_u32_e64 s4, 17, v56
	v_or_b32_sdwa v22, v47, v22 dst_sel:WORD_1 dst_unused:UNUSED_PAD src0_sel:DWORD src1_sel:DWORD
	v_cndmask_b32_e64 v44, 1, v44, s4
	v_cmp_ne_u32_e64 s4, 18, v56
	v_or_b32_sdwa v21, v21, v22 dst_sel:DWORD dst_unused:UNUSED_PAD src0_sel:WORD_0 src1_sel:DWORD
	v_lshlrev_b16 v44, 8, v44
	v_cndmask_b32_e64 v48, 1, v48, s4
	v_cmp_ne_u32_e64 s4, 19, v56
	v_or_b32_sdwa v40, v40, v44 dst_sel:DWORD dst_unused:UNUSED_PAD src0_sel:BYTE_0 src1_sel:DWORD
	v_cndmask_b32_e64 v50, 1, v51, s4
	v_cmp_ne_u32_e64 s4, 12, v56
	v_lshlrev_b16 v50, 8, v50
	v_cndmask_b32_e64 v24, 1, v24, s4
	v_cmp_ne_u32_e64 s4, 13, v56
	v_or_b32_sdwa v43, v48, v50 dst_sel:WORD_1 dst_unused:UNUSED_PAD src0_sel:DWORD src1_sel:DWORD
	v_cndmask_b32_e64 v49, 1, v49, s4
	v_cmp_ne_u32_e64 s4, 14, v56
	v_or_b32_sdwa v22, v40, v43 dst_sel:DWORD dst_unused:UNUSED_PAD src0_sel:WORD_0 src1_sel:DWORD
	;; [unrolled: 13-line block ×3, first 2 shown]
	v_lshlrev_b16 v51, 8, v51
	v_cndmask_b32_e64 v45, 1, v45, s4
	v_cmp_ne_u32_e64 s4, 11, v56
	v_or_b32_sdwa v27, v27, v51 dst_sel:DWORD dst_unused:UNUSED_PAD src0_sel:BYTE_0 src1_sel:DWORD
	v_cndmask_b32_e64 v52, 1, v52, s4
	v_cmp_ne_u32_e64 s4, 5, v56
	v_lshlrev_b16 v52, 8, v52
	v_cndmask_b32_e64 v54, 1, v55, s4
	v_cmp_ne_u32_e64 s4, 4, v56
	v_add_nc_u32_e32 v55, v58, v56
	v_cndmask_b32_e64 v58, v41, 1, vcc_lo
	v_cmp_eq_u32_e32 vcc_lo, 1, v56
	v_lshlrev_b16 v54, 8, v54
	v_cndmask_b32_e64 v28, 1, v28, s4
	v_cmp_ne_u32_e64 s4, 6, v56
	v_or_b32_sdwa v45, v45, v52 dst_sel:WORD_1 dst_unused:UNUSED_PAD src0_sel:DWORD src1_sel:DWORD
	v_cndmask_b32_e64 v65, v65, 1, vcc_lo
	v_cmp_ne_u32_e32 vcc_lo, 3, v56
	v_or_b32_sdwa v28, v28, v54 dst_sel:DWORD dst_unused:UNUSED_PAD src0_sel:BYTE_0 src1_sel:DWORD
	v_cndmask_b32_e64 v29, 1, v29, s4
	v_cmp_ne_u32_e64 s4, 7, v56
	v_lshlrev_b16 v44, 8, v65
	v_cndmask_b32_e32 v66, 1, v66, vcc_lo
	v_cmp_ne_u32_e32 vcc_lo, 2, v56
	v_or_b32_sdwa v27, v27, v45 dst_sel:DWORD dst_unused:UNUSED_PAD src0_sel:WORD_0 src1_sel:DWORD
	v_cndmask_b32_e64 v53, 1, v53, s4
	v_or_b32_sdwa v44, v58, v44 dst_sel:DWORD dst_unused:UNUSED_PAD src0_sel:BYTE_0 src1_sel:DWORD
	v_lshlrev_b16 v46, 8, v66
	v_cndmask_b32_e32 v56, 1, v67, vcc_lo
	v_cmp_eq_u32_e32 vcc_lo, 0, v57
	v_lshlrev_b16 v53, 8, v53
	v_add_nc_u32_e32 v60, v55, v60
	v_or_b32_sdwa v46, v56, v46 dst_sel:WORD_1 dst_unused:UNUSED_PAD src0_sel:BYTE_0 src1_sel:DWORD
	v_cndmask_b32_e32 v26, v27, v26, vcc_lo
	v_or_b32_sdwa v29, v29, v53 dst_sel:WORD_1 dst_unused:UNUSED_PAD src0_sel:BYTE_0 src1_sel:DWORD
	v_cndmask_b32_e32 v20, v24, v20, vcc_lo
	v_cndmask_b32_e32 v22, v22, v23, vcc_lo
	;; [unrolled: 1-line block ×3, first 2 shown]
	v_lshrrev_b32_e32 v54, 8, v26
	v_or_b32_sdwa v28, v28, v29 dst_sel:DWORD dst_unused:UNUSED_PAD src0_sel:WORD_0 src1_sel:DWORD
	v_or_b32_sdwa v29, v44, v46 dst_sel:DWORD dst_unused:UNUSED_PAD src0_sel:WORD_0 src1_sel:DWORD
	v_lshrrev_b32_e32 v45, 8, v22
	v_lshrrev_b32_e32 v43, 16, v19
	;; [unrolled: 1-line block ×3, first 2 shown]
	v_cndmask_b32_e32 v28, v28, v42, vcc_lo
	v_cndmask_b32_e32 v29, v29, v41, vcc_lo
	v_cmp_ne_u32_e32 vcc_lo, 0, v55
	v_lshrrev_b32_e32 v41, 8, v19
	v_lshrrev_b32_e32 v42, 24, v19
	;; [unrolled: 1-line block ×4, first 2 shown]
	v_cndmask_b32_e32 v21, 2, v29, vcc_lo
	v_cmp_ne_u32_e32 vcc_lo, 20, v55
	v_lshrrev_b32_e32 v24, 24, v29
	v_lshrrev_b32_e32 v27, 16, v29
	;; [unrolled: 1-line block ×4, first 2 shown]
	v_cndmask_b32_e32 v40, 2, v19, vcc_lo
	v_cmp_ne_u32_e32 vcc_lo, 16, v55
	v_lshrrev_b32_e32 v52, 16, v20
	v_lshrrev_b32_e32 v56, 24, v26
	;; [unrolled: 1-line block ×3, first 2 shown]
	v_add_nc_u32_e32 v47, v60, v62
	v_cndmask_b32_e32 v44, 2, v22, vcc_lo
	v_cmp_ne_u32_e32 vcc_lo, 12, v55
	v_lshrrev_b32_e32 v62, 8, v28
	v_lshrrev_b32_e32 v65, 16, v28
	v_add_nc_u32_e32 v25, v47, v64
	v_lshrrev_b32_e32 v64, 24, v28
	v_cndmask_b32_e32 v49, 2, v20, vcc_lo
	v_cmp_ne_u32_e32 vcc_lo, 8, v55
	v_cndmask_b32_e32 v53, 2, v26, vcc_lo
	v_cmp_ne_u32_e32 vcc_lo, 4, v55
	;; [unrolled: 2-line block ×4, first 2 shown]
	v_lshlrev_b16 v23, 8, v23
	v_cndmask_b32_e32 v24, 2, v24, vcc_lo
	v_cmp_ne_u32_e32 vcc_lo, 2, v55
	v_or_b32_sdwa v21, v21, v23 dst_sel:DWORD dst_unused:UNUSED_PAD src0_sel:BYTE_0 src1_sel:DWORD
	v_lshlrev_b16 v24, 8, v24
	v_cndmask_b32_e32 v27, 2, v27, vcc_lo
	v_cmp_ne_u32_e32 vcc_lo, 21, v55
	v_or_b32_sdwa v23, v27, v24 dst_sel:WORD_1 dst_unused:UNUSED_PAD src0_sel:BYTE_0 src1_sel:DWORD
	v_cndmask_b32_e32 v41, 2, v41, vcc_lo
	v_cmp_ne_u32_e32 vcc_lo, 23, v55
	v_or_b32_sdwa v21, v21, v23 dst_sel:DWORD dst_unused:UNUSED_PAD src0_sel:WORD_0 src1_sel:DWORD
	v_lshlrev_b16 v41, 8, v41
	v_cndmask_b32_e32 v42, 2, v42, vcc_lo
	v_cmp_ne_u32_e32 vcc_lo, 22, v55
	v_or_b32_sdwa v24, v40, v41 dst_sel:DWORD dst_unused:UNUSED_PAD src0_sel:BYTE_0 src1_sel:DWORD
	v_lshlrev_b16 v42, 8, v42
	v_cndmask_b32_e32 v43, 2, v43, vcc_lo
	v_cmp_ne_u32_e32 vcc_lo, 17, v55
	v_or_b32_sdwa v27, v43, v42 dst_sel:WORD_1 dst_unused:UNUSED_PAD src0_sel:BYTE_0 src1_sel:DWORD
	v_cndmask_b32_e32 v45, 2, v45, vcc_lo
	v_cmp_ne_u32_e32 vcc_lo, 19, v55
	v_or_b32_sdwa v23, v24, v27 dst_sel:DWORD dst_unused:UNUSED_PAD src0_sel:WORD_0 src1_sel:DWORD
	;; [unrolled: 11-line block ×5, first 2 shown]
	v_lshlrev_b16 v62, 8, v62
	v_cndmask_b32_e32 v64, 2, v64, vcc_lo
	v_cmp_ne_u32_e32 vcc_lo, 6, v55
	v_or_b32_sdwa v45, v58, v62 dst_sel:DWORD dst_unused:UNUSED_PAD src0_sel:BYTE_0 src1_sel:DWORD
	v_lshlrev_b16 v64, 8, v64
	v_cndmask_b32_e32 v55, 2, v65, vcc_lo
	v_cmp_eq_u32_e32 vcc_lo, 0, v59
	v_or_b32_sdwa v46, v55, v64 dst_sel:WORD_1 dst_unused:UNUSED_PAD src0_sel:BYTE_0 src1_sel:DWORD
	v_cndmask_b32_e32 v21, v21, v29, vcc_lo
	v_cndmask_b32_e32 v26, v27, v26, vcc_lo
	;; [unrolled: 1-line block ×4, first 2 shown]
	v_or_b32_sdwa v24, v45, v46 dst_sel:DWORD dst_unused:UNUSED_PAD src0_sel:WORD_0 src1_sel:DWORD
	v_cndmask_b32_e32 v19, v23, v19, vcc_lo
	v_lshrrev_b32_e32 v27, 8, v21
	v_lshrrev_b32_e32 v29, 16, v21
	v_lshrrev_b32_e32 v45, 8, v22
	v_cndmask_b32_e32 v24, v24, v28, vcc_lo
	v_cmp_ne_u32_e32 vcc_lo, 0, v60
	v_lshrrev_b32_e32 v28, 24, v21
	v_lshrrev_b32_e32 v41, 8, v19
	v_lshrrev_b32_e32 v42, 24, v19
	v_lshrrev_b32_e32 v43, 16, v19
	v_cndmask_b32_e32 v23, 3, v21, vcc_lo
	v_cmp_ne_u32_e32 vcc_lo, 20, v60
	v_lshrrev_b32_e32 v46, 24, v22
	;; [unrolled: 6-line block ×4, first 2 shown]
	v_lshrrev_b32_e32 v59, 24, v24
	v_lshrrev_b32_e32 v62, 16, v24
	v_cndmask_b32_e32 v49, 3, v20, vcc_lo
	v_cmp_ne_u32_e32 vcc_lo, 8, v60
	v_cndmask_b32_e32 v53, 3, v26, vcc_lo
	v_cmp_ne_u32_e32 vcc_lo, 4, v60
	;; [unrolled: 2-line block ×4, first 2 shown]
	v_lshlrev_b16 v27, 8, v27
	v_cndmask_b32_e32 v28, 3, v28, vcc_lo
	v_cmp_ne_u32_e32 vcc_lo, 2, v60
	v_or_b32_sdwa v23, v23, v27 dst_sel:DWORD dst_unused:UNUSED_PAD src0_sel:BYTE_0 src1_sel:DWORD
	v_lshlrev_b16 v28, 8, v28
	v_cndmask_b32_e32 v29, 3, v29, vcc_lo
	v_cmp_ne_u32_e32 vcc_lo, 21, v60
	v_or_b32_sdwa v27, v29, v28 dst_sel:WORD_1 dst_unused:UNUSED_PAD src0_sel:BYTE_0 src1_sel:DWORD
	v_cndmask_b32_e32 v41, 3, v41, vcc_lo
	v_cmp_ne_u32_e32 vcc_lo, 23, v60
	v_or_b32_sdwa v23, v23, v27 dst_sel:DWORD dst_unused:UNUSED_PAD src0_sel:WORD_0 src1_sel:DWORD
	v_lshlrev_b16 v41, 8, v41
	v_cndmask_b32_e32 v42, 3, v42, vcc_lo
	v_cmp_ne_u32_e32 vcc_lo, 22, v60
	v_or_b32_sdwa v28, v40, v41 dst_sel:DWORD dst_unused:UNUSED_PAD src0_sel:BYTE_0 src1_sel:DWORD
	v_lshlrev_b16 v42, 8, v42
	v_cndmask_b32_e32 v43, 3, v43, vcc_lo
	v_cmp_ne_u32_e32 vcc_lo, 17, v60
	v_or_b32_sdwa v29, v43, v42 dst_sel:WORD_1 dst_unused:UNUSED_PAD src0_sel:BYTE_0 src1_sel:DWORD
	v_cndmask_b32_e32 v45, 3, v45, vcc_lo
	v_cmp_ne_u32_e32 vcc_lo, 19, v60
	v_or_b32_sdwa v27, v28, v29 dst_sel:DWORD dst_unused:UNUSED_PAD src0_sel:WORD_0 src1_sel:DWORD
	;; [unrolled: 11-line block ×5, first 2 shown]
	v_lshlrev_b16 v58, 8, v58
	v_cndmask_b32_e32 v59, 3, v59, vcc_lo
	v_cmp_ne_u32_e32 vcc_lo, 6, v60
	v_or_b32_sdwa v45, v57, v58 dst_sel:DWORD dst_unused:UNUSED_PAD src0_sel:BYTE_0 src1_sel:DWORD
	v_lshlrev_b16 v59, 8, v59
	v_cndmask_b32_e32 v60, 3, v62, vcc_lo
	v_cmp_eq_u32_e32 vcc_lo, 0, v61
	v_or_b32_sdwa v46, v60, v59 dst_sel:WORD_1 dst_unused:UNUSED_PAD src0_sel:BYTE_0 src1_sel:DWORD
	v_cndmask_b32_e32 v21, v23, v21, vcc_lo
	v_cndmask_b32_e32 v20, v42, v20, vcc_lo
	;; [unrolled: 1-line block ×4, first 2 shown]
	v_or_b32_sdwa v28, v45, v46 dst_sel:DWORD dst_unused:UNUSED_PAD src0_sel:WORD_0 src1_sel:DWORD
	v_lshrrev_b32_e32 v27, 8, v21
	v_lshrrev_b32_e32 v50, 8, v20
	;; [unrolled: 1-line block ×4, first 2 shown]
	v_cndmask_b32_e32 v23, v28, v24, vcc_lo
	v_cndmask_b32_e32 v24, v29, v26, vcc_lo
	v_cmp_ne_u32_e32 vcc_lo, 0, v47
	v_lshrrev_b32_e32 v28, 24, v21
	v_lshrrev_b32_e32 v29, 16, v21
	v_lshrrev_b32_e32 v42, 24, v19
	v_lshrrev_b32_e32 v43, 16, v19
	v_cndmask_b32_e32 v26, 4, v21, vcc_lo
	v_cmp_ne_u32_e32 vcc_lo, 20, v47
	v_lshrrev_b32_e32 v46, 24, v22
	v_lshrrev_b32_e32 v48, 16, v22
	v_lshrrev_b32_e32 v51, 24, v20
	v_lshrrev_b32_e32 v52, 16, v20
	;; [unrolled: 6-line block ×3, first 2 shown]
	v_cndmask_b32_e32 v44, 4, v22, vcc_lo
	v_cmp_ne_u32_e32 vcc_lo, 12, v47
	v_lshrrev_b32_e32 v59, 24, v23
	v_lshrrev_b32_e32 v60, 16, v23
	v_cndmask_b32_e32 v49, 4, v20, vcc_lo
	v_cmp_ne_u32_e32 vcc_lo, 8, v47
	v_cndmask_b32_e32 v53, 4, v24, vcc_lo
	v_cmp_ne_u32_e32 vcc_lo, 4, v47
	;; [unrolled: 2-line block ×4, first 2 shown]
	v_lshlrev_b16 v27, 8, v27
	v_cndmask_b32_e32 v28, 4, v28, vcc_lo
	v_cmp_ne_u32_e32 vcc_lo, 2, v47
	v_or_b32_sdwa v26, v26, v27 dst_sel:DWORD dst_unused:UNUSED_PAD src0_sel:BYTE_0 src1_sel:DWORD
	v_lshlrev_b16 v28, 8, v28
	v_cndmask_b32_e32 v29, 4, v29, vcc_lo
	v_cmp_ne_u32_e32 vcc_lo, 21, v47
	v_or_b32_sdwa v27, v29, v28 dst_sel:WORD_1 dst_unused:UNUSED_PAD src0_sel:BYTE_0 src1_sel:DWORD
	v_cndmask_b32_e32 v41, 4, v41, vcc_lo
	v_cmp_ne_u32_e32 vcc_lo, 23, v47
	v_or_b32_sdwa v26, v26, v27 dst_sel:DWORD dst_unused:UNUSED_PAD src0_sel:WORD_0 src1_sel:DWORD
	v_lshlrev_b16 v41, 8, v41
	v_cndmask_b32_e32 v42, 4, v42, vcc_lo
	v_cmp_ne_u32_e32 vcc_lo, 22, v47
	v_or_b32_sdwa v28, v40, v41 dst_sel:DWORD dst_unused:UNUSED_PAD src0_sel:BYTE_0 src1_sel:DWORD
	v_lshlrev_b16 v42, 8, v42
	v_cndmask_b32_e32 v43, 4, v43, vcc_lo
	v_cmp_ne_u32_e32 vcc_lo, 17, v47
	v_or_b32_sdwa v29, v43, v42 dst_sel:WORD_1 dst_unused:UNUSED_PAD src0_sel:BYTE_0 src1_sel:DWORD
	v_cndmask_b32_e32 v45, 4, v45, vcc_lo
	v_cmp_ne_u32_e32 vcc_lo, 19, v47
	v_or_b32_sdwa v27, v28, v29 dst_sel:DWORD dst_unused:UNUSED_PAD src0_sel:WORD_0 src1_sel:DWORD
	v_lshlrev_b16 v45, 8, v45
	v_cndmask_b32_e32 v46, 4, v46, vcc_lo
	v_cmp_ne_u32_e32 vcc_lo, 18, v47
	v_or_b32_sdwa v40, v44, v45 dst_sel:DWORD dst_unused:UNUSED_PAD src0_sel:BYTE_0 src1_sel:DWORD
	v_lshlrev_b16 v46, 8, v46
	v_cndmask_b32_e32 v48, 4, v48, vcc_lo
	v_cmp_ne_u32_e32 vcc_lo, 13, v47
	v_or_b32_sdwa v41, v48, v46 dst_sel:WORD_1 dst_unused:UNUSED_PAD src0_sel:BYTE_0 src1_sel:DWORD
	v_cndmask_b32_e32 v50, 4, v50, vcc_lo
	v_cmp_ne_u32_e32 vcc_lo, 15, v47
	v_lshlrev_b16 v50, 8, v50
	v_cndmask_b32_e32 v51, 4, v51, vcc_lo
	v_cmp_ne_u32_e32 vcc_lo, 14, v47
	v_or_b32_sdwa v42, v49, v50 dst_sel:DWORD dst_unused:UNUSED_PAD src0_sel:BYTE_0 src1_sel:DWORD
	v_lshlrev_b16 v51, 8, v51
	v_cndmask_b32_e32 v52, 4, v52, vcc_lo
	v_cmp_ne_u32_e32 vcc_lo, 9, v47
	v_or_b32_sdwa v43, v52, v51 dst_sel:WORD_1 dst_unused:UNUSED_PAD src0_sel:BYTE_0 src1_sel:DWORD
	v_cndmask_b32_e32 v54, 4, v54, vcc_lo
	v_cmp_ne_u32_e32 vcc_lo, 11, v47
	v_or_b32_sdwa v42, v42, v43 dst_sel:DWORD dst_unused:UNUSED_PAD src0_sel:WORD_0 src1_sel:DWORD
	v_lshlrev_b16 v54, 8, v54
	v_cndmask_b32_e32 v55, 4, v55, vcc_lo
	v_cmp_ne_u32_e32 vcc_lo, 10, v47
	v_or_b32_sdwa v44, v53, v54 dst_sel:DWORD dst_unused:UNUSED_PAD src0_sel:BYTE_0 src1_sel:DWORD
	v_lshlrev_b16 v55, 8, v55
	v_cndmask_b32_e32 v56, 4, v56, vcc_lo
	v_cmp_ne_u32_e32 vcc_lo, 5, v47
	v_cndmask_b32_e32 v58, 4, v58, vcc_lo
	v_cmp_ne_u32_e32 vcc_lo, 7, v47
	v_lshlrev_b16 v58, 8, v58
	v_cndmask_b32_e32 v59, 4, v59, vcc_lo
	v_cmp_ne_u32_e32 vcc_lo, 6, v47
	v_or_b32_sdwa v45, v57, v58 dst_sel:DWORD dst_unused:UNUSED_PAD src0_sel:BYTE_0 src1_sel:DWORD
	v_lshlrev_b16 v59, 8, v59
	v_cndmask_b32_e32 v47, 4, v60, vcc_lo
	v_cmp_eq_u32_e32 vcc_lo, 0, v63
	v_or_b32_sdwa v46, v47, v59 dst_sel:WORD_1 dst_unused:UNUSED_PAD src0_sel:BYTE_0 src1_sel:DWORD
	v_or_b32_sdwa v47, v56, v55 dst_sel:WORD_1 dst_unused:UNUSED_PAD src0_sel:BYTE_0 src1_sel:DWORD
	v_cndmask_b32_e32 v21, v26, v21, vcc_lo
	v_or_b32_sdwa v26, v40, v41 dst_sel:DWORD dst_unused:UNUSED_PAD src0_sel:WORD_0 src1_sel:DWORD
	v_cndmask_b32_e32 v20, v42, v20, vcc_lo
	v_or_b32_sdwa v28, v45, v46 dst_sel:DWORD dst_unused:UNUSED_PAD src0_sel:WORD_0 src1_sel:DWORD
	v_or_b32_sdwa v29, v44, v47 dst_sel:DWORD dst_unused:UNUSED_PAD src0_sel:WORD_0 src1_sel:DWORD
	v_cndmask_b32_e32 v19, v27, v19, vcc_lo
	v_cndmask_b32_e32 v22, v26, v22, vcc_lo
	v_lshrrev_b32_e32 v26, 24, v21
	v_cndmask_b32_e32 v23, v28, v23, vcc_lo
	v_cndmask_b32_e32 v24, v29, v24, vcc_lo
	v_lshrrev_b32_e32 v28, 8, v21
	v_cmp_ne_u32_e32 vcc_lo, 1, v25
	v_lshrrev_b32_e32 v41, 8, v19
	v_lshrrev_b32_e32 v45, 16, v20
	;; [unrolled: 1-line block ×4, first 2 shown]
	v_cndmask_b32_e32 v27, 5, v28, vcc_lo
	v_cmp_ne_u32_e32 vcc_lo, 3, v25
	v_lshrrev_b32_e32 v28, 16, v21
	v_and_b32_e32 v40, 32, v18
	v_lshlrev_b16 v27, 8, v27
	v_cndmask_b32_e32 v26, 5, v26, vcc_lo
	v_cmp_ne_u32_e32 vcc_lo, 0, v25
	v_lshlrev_b16 v26, 8, v26
	v_cndmask_b32_e32 v29, 5, v21, vcc_lo
	v_cmp_ne_u32_e32 vcc_lo, 2, v25
	v_or_b32_sdwa v27, v29, v27 dst_sel:DWORD dst_unused:UNUSED_PAD src0_sel:BYTE_0 src1_sel:DWORD
	v_cndmask_b32_e32 v28, 5, v28, vcc_lo
	v_cmp_ne_u32_e32 vcc_lo, 21, v25
	v_lshrrev_b32_e32 v29, 24, v19
	v_or_b32_sdwa v26, v28, v26 dst_sel:WORD_1 dst_unused:UNUSED_PAD src0_sel:BYTE_0 src1_sel:DWORD
	v_cndmask_b32_e32 v28, 5, v41, vcc_lo
	v_cmp_ne_u32_e32 vcc_lo, 23, v25
	v_lshrrev_b32_e32 v41, 16, v19
	v_or_b32_sdwa v26, v27, v26 dst_sel:DWORD dst_unused:UNUSED_PAD src0_sel:WORD_0 src1_sel:DWORD
	v_lshlrev_b16 v28, 8, v28
	v_cndmask_b32_e32 v29, 5, v29, vcc_lo
	v_cmp_ne_u32_e32 vcc_lo, 20, v25
	v_lshrrev_b32_e32 v27, 8, v22
	v_lshlrev_b16 v29, 8, v29
	v_cndmask_b32_e32 v42, 5, v19, vcc_lo
	v_cmp_ne_u32_e32 vcc_lo, 22, v25
	v_or_b32_sdwa v28, v42, v28 dst_sel:DWORD dst_unused:UNUSED_PAD src0_sel:BYTE_0 src1_sel:DWORD
	v_cndmask_b32_e32 v41, 5, v41, vcc_lo
	v_cmp_ne_u32_e32 vcc_lo, 17, v25
	v_lshrrev_b32_e32 v42, 24, v22
	v_or_b32_sdwa v29, v41, v29 dst_sel:WORD_1 dst_unused:UNUSED_PAD src0_sel:BYTE_0 src1_sel:DWORD
	v_cndmask_b32_e32 v27, 5, v27, vcc_lo
	v_cmp_ne_u32_e32 vcc_lo, 19, v25
	v_or_b32_sdwa v28, v28, v29 dst_sel:DWORD dst_unused:UNUSED_PAD src0_sel:WORD_0 src1_sel:DWORD
	v_lshlrev_b16 v27, 8, v27
	v_cndmask_b32_e32 v41, 5, v42, vcc_lo
	v_cmp_ne_u32_e32 vcc_lo, 16, v25
	v_lshrrev_b32_e32 v42, 16, v22
	v_lshrrev_b32_e32 v29, 8, v20
	v_lshlrev_b16 v41, 8, v41
	v_cndmask_b32_e32 v43, 5, v22, vcc_lo
	v_cmp_ne_u32_e32 vcc_lo, 18, v25
	v_or_b32_sdwa v27, v43, v27 dst_sel:DWORD dst_unused:UNUSED_PAD src0_sel:BYTE_0 src1_sel:DWORD
	v_cndmask_b32_e32 v42, 5, v42, vcc_lo
	v_cmp_ne_u32_e32 vcc_lo, 13, v25
	v_lshrrev_b32_e32 v43, 24, v20
	v_or_b32_sdwa v41, v42, v41 dst_sel:WORD_1 dst_unused:UNUSED_PAD src0_sel:BYTE_0 src1_sel:DWORD
	v_cndmask_b32_e32 v29, 5, v29, vcc_lo
	v_cmp_ne_u32_e32 vcc_lo, 15, v25
	v_or_b32_sdwa v27, v27, v41 dst_sel:DWORD dst_unused:UNUSED_PAD src0_sel:WORD_0 src1_sel:DWORD
	v_lshlrev_b16 v29, 8, v29
	v_cndmask_b32_e32 v42, 5, v43, vcc_lo
	v_cmp_ne_u32_e32 vcc_lo, 12, v25
	v_lshrrev_b32_e32 v41, 24, v24
	v_lshlrev_b16 v42, 8, v42
	v_cndmask_b32_e32 v43, 5, v20, vcc_lo
	v_cmp_ne_u32_e32 vcc_lo, 9, v25
	v_or_b32_sdwa v29, v43, v29 dst_sel:DWORD dst_unused:UNUSED_PAD src0_sel:BYTE_0 src1_sel:DWORD
	v_cndmask_b32_e32 v44, 5, v44, vcc_lo
	v_cmp_ne_u32_e32 vcc_lo, 14, v25
	v_lshlrev_b16 v44, 8, v44
	v_cndmask_b32_e32 v45, 5, v45, vcc_lo
	v_cmp_ne_u32_e32 vcc_lo, 8, v25
	v_or_b32_sdwa v42, v45, v42 dst_sel:WORD_1 dst_unused:UNUSED_PAD src0_sel:BYTE_0 src1_sel:DWORD
	v_cndmask_b32_e32 v46, 5, v24, vcc_lo
	v_cmp_ne_u32_e32 vcc_lo, 11, v25
	v_lshrrev_b32_e32 v45, 24, v23
	v_or_b32_sdwa v29, v29, v42 dst_sel:DWORD dst_unused:UNUSED_PAD src0_sel:WORD_0 src1_sel:DWORD
	v_or_b32_sdwa v43, v46, v44 dst_sel:DWORD dst_unused:UNUSED_PAD src0_sel:BYTE_0 src1_sel:DWORD
	v_lshrrev_b32_e32 v44, 8, v23
	v_cndmask_b32_e32 v41, 5, v41, vcc_lo
	v_cmp_ne_u32_e32 vcc_lo, 5, v25
	v_lshrrev_b32_e32 v46, 16, v24
	v_lshlrev_b16 v41, 8, v41
	v_cndmask_b32_e32 v44, 5, v44, vcc_lo
	v_cmp_ne_u32_e32 vcc_lo, 7, v25
	v_lshlrev_b16 v44, 8, v44
	v_cndmask_b32_e32 v45, 5, v45, vcc_lo
	v_cmp_ne_u32_e32 vcc_lo, 4, v25
	;; [unrolled: 3-line block ×3, first 2 shown]
	v_or_b32_sdwa v44, v48, v44 dst_sel:DWORD dst_unused:UNUSED_PAD src0_sel:BYTE_0 src1_sel:DWORD
	v_cndmask_b32_e32 v47, 5, v47, vcc_lo
	v_cmp_ne_u32_e32 vcc_lo, 10, v25
	v_or_b32_sdwa v45, v47, v45 dst_sel:WORD_1 dst_unused:UNUSED_PAD src0_sel:BYTE_0 src1_sel:DWORD
	v_cndmask_b32_e32 v46, 5, v46, vcc_lo
	v_bfe_u32 v47, v18, 5, 1
	v_cmp_eq_u32_e32 vcc_lo, 0, v40
	v_or_b32_sdwa v40, v44, v45 dst_sel:DWORD dst_unused:UNUSED_PAD src0_sel:WORD_0 src1_sel:DWORD
	v_add_nc_u32_e32 v25, v25, v47
	v_cndmask_b32_e32 v21, v26, v21, vcc_lo
	v_or_b32_sdwa v26, v46, v41 dst_sel:WORD_1 dst_unused:UNUSED_PAD src0_sel:BYTE_0 src1_sel:DWORD
	v_cndmask_b32_e32 v23, v40, v23, vcc_lo
	v_cndmask_b32_e32 v19, v28, v19, vcc_lo
	v_cmp_ne_u32_e64 s4, 1, v25
	v_lshrrev_b32_e32 v41, 8, v21
	v_lshrrev_b32_e32 v42, 24, v21
	v_or_b32_sdwa v26, v43, v26 dst_sel:DWORD dst_unused:UNUSED_PAD src0_sel:WORD_0 src1_sel:DWORD
	v_cndmask_b32_e32 v20, v29, v20, vcc_lo
	v_cndmask_b32_e32 v22, v27, v22, vcc_lo
	v_cndmask_b32_e64 v40, 6, v41, s4
	v_cmp_ne_u32_e64 s4, 3, v25
	v_cndmask_b32_e32 v24, v26, v24, vcc_lo
	v_lshrrev_b32_e32 v27, 8, v19
	v_cmp_ne_u32_e32 vcc_lo, 21, v25
	v_lshlrev_b16 v40, 8, v40
	v_cndmask_b32_e64 v41, 6, v42, s4
	v_cmp_ne_u32_e64 s4, 0, v25
	v_lshrrev_b32_e32 v42, 16, v21
	v_cndmask_b32_e32 v27, 6, v27, vcc_lo
	v_cmp_ne_u32_e32 vcc_lo, 23, v25
	v_lshlrev_b16 v41, 8, v41
	v_cndmask_b32_e64 v43, 6, v21, s4
	v_cmp_ne_u32_e64 s4, 2, v25
	v_and_b32_e32 v29, 64, v18
	v_lshlrev_b16 v27, 8, v27
	v_lshrrev_b32_e32 v44, 24, v20
	v_or_b32_sdwa v26, v43, v40 dst_sel:DWORD dst_unused:UNUSED_PAD src0_sel:BYTE_0 src1_sel:DWORD
	v_cndmask_b32_e64 v42, 6, v42, s4
	v_lshrrev_b32_e32 v40, 24, v19
	v_cmp_ne_u32_e64 s4, 17, v25
	v_lshrrev_b32_e32 v43, 16, v22
	v_lshrrev_b32_e32 v47, 16, v24
	v_or_b32_sdwa v28, v42, v41 dst_sel:WORD_1 dst_unused:UNUSED_PAD src0_sel:BYTE_0 src1_sel:DWORD
	v_lshrrev_b32_e32 v42, 8, v20
	v_lshrrev_b32_e32 v48, 8, v23
	;; [unrolled: 1-line block ×4, first 2 shown]
	v_or_b32_sdwa v26, v26, v28 dst_sel:DWORD dst_unused:UNUSED_PAD src0_sel:WORD_0 src1_sel:DWORD
	v_cndmask_b32_e32 v28, 6, v40, vcc_lo
	v_cmp_ne_u32_e32 vcc_lo, 20, v25
	v_lshrrev_b32_e32 v40, 16, v19
	v_lshlrev_b16 v28, 8, v28
	v_cndmask_b32_e32 v41, 6, v19, vcc_lo
	v_cmp_ne_u32_e32 vcc_lo, 22, v25
	v_or_b32_sdwa v27, v41, v27 dst_sel:DWORD dst_unused:UNUSED_PAD src0_sel:BYTE_0 src1_sel:DWORD
	v_cndmask_b32_e32 v40, 6, v40, vcc_lo
	v_cmp_eq_u32_e32 vcc_lo, 0, v29
	v_lshrrev_b32_e32 v29, 8, v22
	v_lshrrev_b32_e32 v41, 24, v22
	v_or_b32_sdwa v28, v40, v28 dst_sel:WORD_1 dst_unused:UNUSED_PAD src0_sel:BYTE_0 src1_sel:DWORD
	v_cndmask_b32_e32 v21, v26, v21, vcc_lo
	v_cndmask_b32_e64 v29, 6, v29, s4
	v_cmp_ne_u32_e64 s4, 19, v25
	v_or_b32_sdwa v27, v27, v28 dst_sel:DWORD dst_unused:UNUSED_PAD src0_sel:WORD_0 src1_sel:DWORD
	v_lshrrev_b32_e32 v26, 8, v21
	v_lshlrev_b16 v29, 8, v29
	v_cndmask_b32_e64 v40, 6, v41, s4
	v_cmp_ne_u32_e64 s4, 16, v25
	v_cndmask_b32_e32 v19, v27, v19, vcc_lo
	v_lshlrev_b16 v40, 8, v40
	v_cndmask_b32_e64 v41, 6, v22, s4
	v_cmp_ne_u32_e64 s4, 13, v25
	v_or_b32_sdwa v29, v41, v29 dst_sel:DWORD dst_unused:UNUSED_PAD src0_sel:BYTE_0 src1_sel:DWORD
	v_cndmask_b32_e64 v42, 6, v42, s4
	v_cmp_ne_u32_e64 s4, 18, v25
	v_lshlrev_b16 v42, 8, v42
	v_cndmask_b32_e64 v43, 6, v43, s4
	v_cmp_ne_u32_e64 s4, 12, v25
	v_or_b32_sdwa v40, v43, v40 dst_sel:WORD_1 dst_unused:UNUSED_PAD src0_sel:BYTE_0 src1_sel:DWORD
	v_cndmask_b32_e64 v45, 6, v20, s4
	v_cmp_ne_u32_e64 s4, 15, v25
	v_or_b32_sdwa v28, v29, v40 dst_sel:DWORD dst_unused:UNUSED_PAD src0_sel:WORD_0 src1_sel:DWORD
	v_or_b32_sdwa v41, v45, v42 dst_sel:DWORD dst_unused:UNUSED_PAD src0_sel:BYTE_0 src1_sel:DWORD
	v_cndmask_b32_e64 v44, 6, v44, s4
	v_lshrrev_b32_e32 v42, 8, v24
	v_cmp_ne_u32_e64 s4, 9, v25
	v_lshrrev_b32_e32 v45, 16, v20
	v_cndmask_b32_e32 v22, v28, v22, vcc_lo
	v_lshlrev_b16 v43, 8, v44
	v_lshrrev_b32_e32 v44, 24, v24
	v_cndmask_b32_e64 v42, 6, v42, s4
	v_cmp_ne_u32_e64 s4, 11, v25
	v_lshrrev_b32_e32 v28, 24, v21
	v_lshlrev_b16 v42, 8, v42
	v_cndmask_b32_e64 v44, 6, v44, s4
	v_cmp_ne_u32_e64 s4, 8, v25
	v_lshlrev_b16 v44, 8, v44
	v_cndmask_b32_e64 v46, 6, v24, s4
	v_cmp_ne_u32_e64 s4, 10, v25
	v_or_b32_sdwa v42, v46, v42 dst_sel:DWORD dst_unused:UNUSED_PAD src0_sel:BYTE_0 src1_sel:DWORD
	v_cndmask_b32_e64 v47, 6, v47, s4
	v_cmp_ne_u32_e64 s4, 5, v25
	v_or_b32_sdwa v44, v47, v44 dst_sel:WORD_1 dst_unused:UNUSED_PAD src0_sel:BYTE_0 src1_sel:DWORD
	v_cndmask_b32_e64 v48, 6, v48, s4
	v_cmp_ne_u32_e64 s4, 7, v25
	v_or_b32_sdwa v40, v42, v44 dst_sel:DWORD dst_unused:UNUSED_PAD src0_sel:WORD_0 src1_sel:DWORD
	v_lshlrev_b16 v48, 8, v48
	v_cndmask_b32_e64 v49, 6, v49, s4
	v_cmp_ne_u32_e64 s4, 4, v25
	v_bfe_u32 v42, v18, 6, 1
	v_cndmask_b32_e32 v24, v40, v24, vcc_lo
	v_and_b32_e32 v40, 0x80, v18
	v_lshlrev_b16 v49, 8, v49
	v_cndmask_b32_e64 v51, 6, v23, s4
	v_cmp_ne_u32_e64 s4, 6, v25
	v_lshrrev_b32_e32 v44, 8, v24
	v_or_b32_sdwa v46, v51, v48 dst_sel:DWORD dst_unused:UNUSED_PAD src0_sel:BYTE_0 src1_sel:DWORD
	v_cndmask_b32_e64 v50, 6, v50, s4
	v_cmp_ne_u32_e64 s4, 14, v25
	v_add_nc_u32_e32 v25, v25, v42
	v_or_b32_sdwa v48, v50, v49 dst_sel:WORD_1 dst_unused:UNUSED_PAD src0_sel:BYTE_0 src1_sel:DWORD
	v_cndmask_b32_e64 v45, 6, v45, s4
	v_or_b32_sdwa v29, v46, v48 dst_sel:DWORD dst_unused:UNUSED_PAD src0_sel:WORD_0 src1_sel:DWORD
	v_or_b32_sdwa v43, v45, v43 dst_sel:WORD_1 dst_unused:UNUSED_PAD src0_sel:BYTE_0 src1_sel:DWORD
	v_cndmask_b32_e32 v23, v29, v23, vcc_lo
	v_or_b32_sdwa v41, v41, v43 dst_sel:DWORD dst_unused:UNUSED_PAD src0_sel:WORD_0 src1_sel:DWORD
	v_lshrrev_b32_e32 v47, 16, v23
	v_cndmask_b32_e32 v20, v41, v20, vcc_lo
	v_cmp_ne_u32_e32 vcc_lo, 1, v25
	v_lshrrev_b32_e32 v41, 8, v19
	v_lshrrev_b32_e32 v45, 16, v20
	v_cndmask_b32_e32 v26, 7, v26, vcc_lo
	v_cmp_ne_u32_e32 vcc_lo, 3, v25
	v_lshlrev_b16 v26, 8, v26
	v_cndmask_b32_e32 v27, 7, v28, vcc_lo
	v_cmp_ne_u32_e32 vcc_lo, 0, v25
	v_lshrrev_b32_e32 v28, 16, v21
	v_lshlrev_b16 v27, 8, v27
	v_cndmask_b32_e32 v29, 7, v21, vcc_lo
	v_cmp_ne_u32_e32 vcc_lo, 2, v25
	v_or_b32_sdwa v26, v29, v26 dst_sel:DWORD dst_unused:UNUSED_PAD src0_sel:BYTE_0 src1_sel:DWORD
	v_cndmask_b32_e32 v28, 7, v28, vcc_lo
	v_cmp_ne_u32_e32 vcc_lo, 21, v25
	v_lshrrev_b32_e32 v29, 24, v19
	v_or_b32_sdwa v27, v28, v27 dst_sel:WORD_1 dst_unused:UNUSED_PAD src0_sel:BYTE_0 src1_sel:DWORD
	v_cndmask_b32_e32 v28, 7, v41, vcc_lo
	v_cmp_ne_u32_e32 vcc_lo, 23, v25
	v_lshrrev_b32_e32 v41, 16, v19
	v_or_b32_sdwa v26, v26, v27 dst_sel:DWORD dst_unused:UNUSED_PAD src0_sel:WORD_0 src1_sel:DWORD
	v_lshlrev_b16 v28, 8, v28
	v_cndmask_b32_e32 v29, 7, v29, vcc_lo
	v_cmp_ne_u32_e32 vcc_lo, 20, v25
	v_lshrrev_b32_e32 v27, 8, v22
	v_lshlrev_b16 v29, 8, v29
	v_cndmask_b32_e32 v42, 7, v19, vcc_lo
	v_cmp_ne_u32_e32 vcc_lo, 22, v25
	v_or_b32_sdwa v28, v42, v28 dst_sel:DWORD dst_unused:UNUSED_PAD src0_sel:BYTE_0 src1_sel:DWORD
	v_cndmask_b32_e32 v41, 7, v41, vcc_lo
	v_cmp_ne_u32_e32 vcc_lo, 17, v25
	v_lshrrev_b32_e32 v42, 24, v22
	v_or_b32_sdwa v29, v41, v29 dst_sel:WORD_1 dst_unused:UNUSED_PAD src0_sel:BYTE_0 src1_sel:DWORD
	v_cndmask_b32_e32 v27, 7, v27, vcc_lo
	v_cmp_ne_u32_e32 vcc_lo, 19, v25
	v_or_b32_sdwa v28, v28, v29 dst_sel:DWORD dst_unused:UNUSED_PAD src0_sel:WORD_0 src1_sel:DWORD
	v_lshlrev_b16 v27, 8, v27
	v_cndmask_b32_e32 v41, 7, v42, vcc_lo
	v_cmp_ne_u32_e32 vcc_lo, 16, v25
	v_lshrrev_b32_e32 v42, 16, v22
	v_lshrrev_b32_e32 v29, 8, v20
	v_lshlrev_b16 v41, 8, v41
	v_cndmask_b32_e32 v43, 7, v22, vcc_lo
	v_cmp_ne_u32_e32 vcc_lo, 18, v25
	v_or_b32_sdwa v27, v43, v27 dst_sel:DWORD dst_unused:UNUSED_PAD src0_sel:BYTE_0 src1_sel:DWORD
	v_cndmask_b32_e32 v42, 7, v42, vcc_lo
	v_cmp_ne_u32_e32 vcc_lo, 13, v25
	v_lshrrev_b32_e32 v43, 24, v20
	v_or_b32_sdwa v41, v42, v41 dst_sel:WORD_1 dst_unused:UNUSED_PAD src0_sel:BYTE_0 src1_sel:DWORD
	v_cndmask_b32_e32 v29, 7, v29, vcc_lo
	v_cmp_ne_u32_e32 vcc_lo, 15, v25
	v_or_b32_sdwa v27, v27, v41 dst_sel:DWORD dst_unused:UNUSED_PAD src0_sel:WORD_0 src1_sel:DWORD
	v_lshlrev_b16 v29, 8, v29
	v_cndmask_b32_e32 v42, 7, v43, vcc_lo
	v_cmp_ne_u32_e32 vcc_lo, 12, v25
	v_lshrrev_b32_e32 v41, 24, v24
	v_lshlrev_b16 v42, 8, v42
	v_cndmask_b32_e32 v43, 7, v20, vcc_lo
	v_cmp_ne_u32_e32 vcc_lo, 9, v25
	v_or_b32_sdwa v29, v43, v29 dst_sel:DWORD dst_unused:UNUSED_PAD src0_sel:BYTE_0 src1_sel:DWORD
	v_cndmask_b32_e32 v44, 7, v44, vcc_lo
	v_cmp_ne_u32_e32 vcc_lo, 14, v25
	v_lshlrev_b16 v44, 8, v44
	v_cndmask_b32_e32 v45, 7, v45, vcc_lo
	v_cmp_ne_u32_e32 vcc_lo, 8, v25
	v_or_b32_sdwa v42, v45, v42 dst_sel:WORD_1 dst_unused:UNUSED_PAD src0_sel:BYTE_0 src1_sel:DWORD
	v_cndmask_b32_e32 v46, 7, v24, vcc_lo
	v_cmp_ne_u32_e32 vcc_lo, 11, v25
	v_lshrrev_b32_e32 v45, 24, v23
	v_or_b32_sdwa v29, v29, v42 dst_sel:DWORD dst_unused:UNUSED_PAD src0_sel:WORD_0 src1_sel:DWORD
	v_or_b32_sdwa v43, v46, v44 dst_sel:DWORD dst_unused:UNUSED_PAD src0_sel:BYTE_0 src1_sel:DWORD
	v_lshrrev_b32_e32 v44, 8, v23
	v_cndmask_b32_e32 v41, 7, v41, vcc_lo
	v_cmp_ne_u32_e32 vcc_lo, 5, v25
	v_lshrrev_b32_e32 v46, 16, v24
	v_lshlrev_b16 v41, 8, v41
	v_cndmask_b32_e32 v44, 7, v44, vcc_lo
	v_cmp_ne_u32_e32 vcc_lo, 7, v25
	v_lshlrev_b16 v44, 8, v44
	v_cndmask_b32_e32 v45, 7, v45, vcc_lo
	v_cmp_ne_u32_e32 vcc_lo, 4, v25
	;; [unrolled: 3-line block ×3, first 2 shown]
	v_or_b32_sdwa v44, v48, v44 dst_sel:DWORD dst_unused:UNUSED_PAD src0_sel:BYTE_0 src1_sel:DWORD
	v_cndmask_b32_e32 v47, 7, v47, vcc_lo
	v_cmp_ne_u32_e32 vcc_lo, 10, v25
	v_or_b32_sdwa v45, v47, v45 dst_sel:WORD_1 dst_unused:UNUSED_PAD src0_sel:BYTE_0 src1_sel:DWORD
	v_cndmask_b32_e32 v46, 7, v46, vcc_lo
	v_bfe_u32 v47, v18, 7, 1
	v_cmp_eq_u32_e32 vcc_lo, 0, v40
	v_or_b32_sdwa v40, v44, v45 dst_sel:DWORD dst_unused:UNUSED_PAD src0_sel:WORD_0 src1_sel:DWORD
	v_add_nc_u32_e32 v25, v25, v47
	v_cndmask_b32_e32 v21, v26, v21, vcc_lo
	v_or_b32_sdwa v26, v46, v41 dst_sel:WORD_1 dst_unused:UNUSED_PAD src0_sel:BYTE_0 src1_sel:DWORD
	v_cndmask_b32_e32 v23, v40, v23, vcc_lo
	v_cndmask_b32_e32 v19, v28, v19, vcc_lo
	v_cmp_ne_u32_e64 s4, 1, v25
	v_lshrrev_b32_e32 v41, 8, v21
	v_lshrrev_b32_e32 v42, 24, v21
	v_or_b32_sdwa v26, v43, v26 dst_sel:DWORD dst_unused:UNUSED_PAD src0_sel:WORD_0 src1_sel:DWORD
	v_cndmask_b32_e32 v20, v29, v20, vcc_lo
	v_cndmask_b32_e32 v22, v27, v22, vcc_lo
	v_cndmask_b32_e64 v40, 8, v41, s4
	v_cmp_ne_u32_e64 s4, 3, v25
	v_cndmask_b32_e32 v24, v26, v24, vcc_lo
	v_lshrrev_b32_e32 v27, 8, v19
	v_cmp_ne_u32_e32 vcc_lo, 21, v25
	v_lshlrev_b16 v40, 8, v40
	v_cndmask_b32_e64 v41, 8, v42, s4
	v_cmp_ne_u32_e64 s4, 0, v25
	v_lshrrev_b32_e32 v42, 16, v21
	v_cndmask_b32_e32 v27, 8, v27, vcc_lo
	v_cmp_ne_u32_e32 vcc_lo, 23, v25
	v_lshlrev_b16 v41, 8, v41
	v_cndmask_b32_e64 v43, 8, v21, s4
	v_cmp_ne_u32_e64 s4, 2, v25
	v_and_b32_e32 v29, 0x100, v18
	v_lshlrev_b16 v27, 8, v27
	v_lshrrev_b32_e32 v44, 24, v20
	v_or_b32_sdwa v26, v43, v40 dst_sel:DWORD dst_unused:UNUSED_PAD src0_sel:BYTE_0 src1_sel:DWORD
	v_cndmask_b32_e64 v42, 8, v42, s4
	v_lshrrev_b32_e32 v40, 24, v19
	v_cmp_ne_u32_e64 s4, 17, v25
	v_lshrrev_b32_e32 v43, 16, v22
	v_lshrrev_b32_e32 v47, 16, v24
	v_or_b32_sdwa v28, v42, v41 dst_sel:WORD_1 dst_unused:UNUSED_PAD src0_sel:BYTE_0 src1_sel:DWORD
	v_lshrrev_b32_e32 v42, 8, v20
	v_lshrrev_b32_e32 v48, 8, v23
	;; [unrolled: 1-line block ×4, first 2 shown]
	v_or_b32_sdwa v26, v26, v28 dst_sel:DWORD dst_unused:UNUSED_PAD src0_sel:WORD_0 src1_sel:DWORD
	v_cndmask_b32_e32 v28, 8, v40, vcc_lo
	v_cmp_ne_u32_e32 vcc_lo, 20, v25
	v_lshrrev_b32_e32 v40, 16, v19
	v_lshlrev_b16 v28, 8, v28
	v_cndmask_b32_e32 v41, 8, v19, vcc_lo
	v_cmp_ne_u32_e32 vcc_lo, 22, v25
	v_or_b32_sdwa v27, v41, v27 dst_sel:DWORD dst_unused:UNUSED_PAD src0_sel:BYTE_0 src1_sel:DWORD
	v_cndmask_b32_e32 v40, 8, v40, vcc_lo
	v_cmp_eq_u32_e32 vcc_lo, 0, v29
	v_lshrrev_b32_e32 v29, 8, v22
	v_lshrrev_b32_e32 v41, 24, v22
	v_or_b32_sdwa v28, v40, v28 dst_sel:WORD_1 dst_unused:UNUSED_PAD src0_sel:BYTE_0 src1_sel:DWORD
	v_cndmask_b32_e32 v21, v26, v21, vcc_lo
	v_cndmask_b32_e64 v29, 8, v29, s4
	v_cmp_ne_u32_e64 s4, 19, v25
	v_or_b32_sdwa v27, v27, v28 dst_sel:DWORD dst_unused:UNUSED_PAD src0_sel:WORD_0 src1_sel:DWORD
	v_lshrrev_b32_e32 v26, 8, v21
	v_lshlrev_b16 v29, 8, v29
	v_cndmask_b32_e64 v40, 8, v41, s4
	v_cmp_ne_u32_e64 s4, 16, v25
	v_cndmask_b32_e32 v19, v27, v19, vcc_lo
	v_lshlrev_b16 v40, 8, v40
	v_cndmask_b32_e64 v41, 8, v22, s4
	v_cmp_ne_u32_e64 s4, 13, v25
	v_or_b32_sdwa v29, v41, v29 dst_sel:DWORD dst_unused:UNUSED_PAD src0_sel:BYTE_0 src1_sel:DWORD
	v_cndmask_b32_e64 v42, 8, v42, s4
	v_cmp_ne_u32_e64 s4, 18, v25
	v_lshlrev_b16 v42, 8, v42
	v_cndmask_b32_e64 v43, 8, v43, s4
	v_cmp_ne_u32_e64 s4, 12, v25
	v_or_b32_sdwa v40, v43, v40 dst_sel:WORD_1 dst_unused:UNUSED_PAD src0_sel:BYTE_0 src1_sel:DWORD
	v_cndmask_b32_e64 v45, 8, v20, s4
	v_cmp_ne_u32_e64 s4, 15, v25
	v_or_b32_sdwa v28, v29, v40 dst_sel:DWORD dst_unused:UNUSED_PAD src0_sel:WORD_0 src1_sel:DWORD
	v_or_b32_sdwa v41, v45, v42 dst_sel:DWORD dst_unused:UNUSED_PAD src0_sel:BYTE_0 src1_sel:DWORD
	v_cndmask_b32_e64 v44, 8, v44, s4
	v_lshrrev_b32_e32 v42, 8, v24
	v_cmp_ne_u32_e64 s4, 9, v25
	v_lshrrev_b32_e32 v45, 16, v20
	v_cndmask_b32_e32 v22, v28, v22, vcc_lo
	v_lshlrev_b16 v43, 8, v44
	v_lshrrev_b32_e32 v44, 24, v24
	v_cndmask_b32_e64 v42, 8, v42, s4
	v_cmp_ne_u32_e64 s4, 11, v25
	v_lshrrev_b32_e32 v28, 24, v21
	v_lshlrev_b16 v42, 8, v42
	v_cndmask_b32_e64 v44, 8, v44, s4
	v_cmp_ne_u32_e64 s4, 8, v25
	v_lshlrev_b16 v44, 8, v44
	v_cndmask_b32_e64 v46, 8, v24, s4
	v_cmp_ne_u32_e64 s4, 10, v25
	v_or_b32_sdwa v42, v46, v42 dst_sel:DWORD dst_unused:UNUSED_PAD src0_sel:BYTE_0 src1_sel:DWORD
	v_cndmask_b32_e64 v47, 8, v47, s4
	v_cmp_ne_u32_e64 s4, 5, v25
	v_or_b32_sdwa v44, v47, v44 dst_sel:WORD_1 dst_unused:UNUSED_PAD src0_sel:BYTE_0 src1_sel:DWORD
	v_cndmask_b32_e64 v48, 8, v48, s4
	v_cmp_ne_u32_e64 s4, 7, v25
	v_or_b32_sdwa v40, v42, v44 dst_sel:DWORD dst_unused:UNUSED_PAD src0_sel:WORD_0 src1_sel:DWORD
	v_lshlrev_b16 v48, 8, v48
	v_cndmask_b32_e64 v49, 8, v49, s4
	v_cmp_ne_u32_e64 s4, 4, v25
	v_bfe_u32 v42, v18, 8, 1
	v_cndmask_b32_e32 v24, v40, v24, vcc_lo
	v_and_b32_e32 v40, 0x200, v18
	v_lshlrev_b16 v49, 8, v49
	v_cndmask_b32_e64 v51, 8, v23, s4
	v_cmp_ne_u32_e64 s4, 6, v25
	v_lshrrev_b32_e32 v44, 8, v24
	v_or_b32_sdwa v46, v51, v48 dst_sel:DWORD dst_unused:UNUSED_PAD src0_sel:BYTE_0 src1_sel:DWORD
	v_cndmask_b32_e64 v50, 8, v50, s4
	v_cmp_ne_u32_e64 s4, 14, v25
	v_add_nc_u32_e32 v25, v25, v42
	v_or_b32_sdwa v48, v50, v49 dst_sel:WORD_1 dst_unused:UNUSED_PAD src0_sel:BYTE_0 src1_sel:DWORD
	v_cndmask_b32_e64 v45, 8, v45, s4
	v_or_b32_sdwa v29, v46, v48 dst_sel:DWORD dst_unused:UNUSED_PAD src0_sel:WORD_0 src1_sel:DWORD
	v_or_b32_sdwa v43, v45, v43 dst_sel:WORD_1 dst_unused:UNUSED_PAD src0_sel:BYTE_0 src1_sel:DWORD
	v_cndmask_b32_e32 v23, v29, v23, vcc_lo
	v_or_b32_sdwa v41, v41, v43 dst_sel:DWORD dst_unused:UNUSED_PAD src0_sel:WORD_0 src1_sel:DWORD
	v_lshrrev_b32_e32 v47, 16, v23
	v_cndmask_b32_e32 v20, v41, v20, vcc_lo
	v_cmp_ne_u32_e32 vcc_lo, 1, v25
	v_lshrrev_b32_e32 v41, 8, v19
	v_lshrrev_b32_e32 v45, 16, v20
	v_cndmask_b32_e32 v26, 9, v26, vcc_lo
	v_cmp_ne_u32_e32 vcc_lo, 3, v25
	v_lshlrev_b16 v26, 8, v26
	v_cndmask_b32_e32 v27, 9, v28, vcc_lo
	v_cmp_ne_u32_e32 vcc_lo, 0, v25
	v_lshrrev_b32_e32 v28, 16, v21
	v_lshlrev_b16 v27, 8, v27
	v_cndmask_b32_e32 v29, 9, v21, vcc_lo
	v_cmp_ne_u32_e32 vcc_lo, 2, v25
	v_or_b32_sdwa v26, v29, v26 dst_sel:DWORD dst_unused:UNUSED_PAD src0_sel:BYTE_0 src1_sel:DWORD
	v_cndmask_b32_e32 v28, 9, v28, vcc_lo
	v_cmp_ne_u32_e32 vcc_lo, 21, v25
	v_lshrrev_b32_e32 v29, 24, v19
	v_or_b32_sdwa v27, v28, v27 dst_sel:WORD_1 dst_unused:UNUSED_PAD src0_sel:BYTE_0 src1_sel:DWORD
	v_cndmask_b32_e32 v28, 9, v41, vcc_lo
	v_cmp_ne_u32_e32 vcc_lo, 23, v25
	v_lshrrev_b32_e32 v41, 16, v19
	v_or_b32_sdwa v26, v26, v27 dst_sel:DWORD dst_unused:UNUSED_PAD src0_sel:WORD_0 src1_sel:DWORD
	v_lshlrev_b16 v28, 8, v28
	v_cndmask_b32_e32 v29, 9, v29, vcc_lo
	v_cmp_ne_u32_e32 vcc_lo, 20, v25
	v_lshrrev_b32_e32 v27, 8, v22
	v_lshlrev_b16 v29, 8, v29
	v_cndmask_b32_e32 v42, 9, v19, vcc_lo
	v_cmp_ne_u32_e32 vcc_lo, 22, v25
	v_or_b32_sdwa v28, v42, v28 dst_sel:DWORD dst_unused:UNUSED_PAD src0_sel:BYTE_0 src1_sel:DWORD
	v_cndmask_b32_e32 v41, 9, v41, vcc_lo
	v_cmp_ne_u32_e32 vcc_lo, 17, v25
	v_lshrrev_b32_e32 v42, 24, v22
	v_or_b32_sdwa v29, v41, v29 dst_sel:WORD_1 dst_unused:UNUSED_PAD src0_sel:BYTE_0 src1_sel:DWORD
	v_cndmask_b32_e32 v27, 9, v27, vcc_lo
	v_cmp_ne_u32_e32 vcc_lo, 19, v25
	v_or_b32_sdwa v28, v28, v29 dst_sel:DWORD dst_unused:UNUSED_PAD src0_sel:WORD_0 src1_sel:DWORD
	v_lshlrev_b16 v27, 8, v27
	v_cndmask_b32_e32 v41, 9, v42, vcc_lo
	v_cmp_ne_u32_e32 vcc_lo, 16, v25
	v_lshrrev_b32_e32 v42, 16, v22
	v_lshrrev_b32_e32 v29, 8, v20
	v_lshlrev_b16 v41, 8, v41
	v_cndmask_b32_e32 v43, 9, v22, vcc_lo
	v_cmp_ne_u32_e32 vcc_lo, 18, v25
	v_or_b32_sdwa v27, v43, v27 dst_sel:DWORD dst_unused:UNUSED_PAD src0_sel:BYTE_0 src1_sel:DWORD
	v_cndmask_b32_e32 v42, 9, v42, vcc_lo
	v_cmp_ne_u32_e32 vcc_lo, 13, v25
	v_lshrrev_b32_e32 v43, 24, v20
	v_or_b32_sdwa v41, v42, v41 dst_sel:WORD_1 dst_unused:UNUSED_PAD src0_sel:BYTE_0 src1_sel:DWORD
	v_cndmask_b32_e32 v29, 9, v29, vcc_lo
	v_cmp_ne_u32_e32 vcc_lo, 15, v25
	v_or_b32_sdwa v27, v27, v41 dst_sel:DWORD dst_unused:UNUSED_PAD src0_sel:WORD_0 src1_sel:DWORD
	v_lshlrev_b16 v29, 8, v29
	v_cndmask_b32_e32 v42, 9, v43, vcc_lo
	v_cmp_ne_u32_e32 vcc_lo, 12, v25
	v_lshrrev_b32_e32 v41, 24, v24
	v_lshlrev_b16 v42, 8, v42
	v_cndmask_b32_e32 v43, 9, v20, vcc_lo
	v_cmp_ne_u32_e32 vcc_lo, 9, v25
	v_or_b32_sdwa v29, v43, v29 dst_sel:DWORD dst_unused:UNUSED_PAD src0_sel:BYTE_0 src1_sel:DWORD
	v_cndmask_b32_e32 v44, 9, v44, vcc_lo
	v_cmp_ne_u32_e32 vcc_lo, 14, v25
	v_lshlrev_b16 v44, 8, v44
	v_cndmask_b32_e32 v45, 9, v45, vcc_lo
	v_cmp_ne_u32_e32 vcc_lo, 8, v25
	v_or_b32_sdwa v42, v45, v42 dst_sel:WORD_1 dst_unused:UNUSED_PAD src0_sel:BYTE_0 src1_sel:DWORD
	v_cndmask_b32_e32 v46, 9, v24, vcc_lo
	v_cmp_ne_u32_e32 vcc_lo, 11, v25
	v_lshrrev_b32_e32 v45, 24, v23
	v_or_b32_sdwa v29, v29, v42 dst_sel:DWORD dst_unused:UNUSED_PAD src0_sel:WORD_0 src1_sel:DWORD
	v_or_b32_sdwa v43, v46, v44 dst_sel:DWORD dst_unused:UNUSED_PAD src0_sel:BYTE_0 src1_sel:DWORD
	v_lshrrev_b32_e32 v44, 8, v23
	v_cndmask_b32_e32 v41, 9, v41, vcc_lo
	v_cmp_ne_u32_e32 vcc_lo, 5, v25
	v_lshrrev_b32_e32 v46, 16, v24
	v_lshlrev_b16 v41, 8, v41
	v_cndmask_b32_e32 v44, 9, v44, vcc_lo
	v_cmp_ne_u32_e32 vcc_lo, 7, v25
	v_lshlrev_b16 v44, 8, v44
	v_cndmask_b32_e32 v45, 9, v45, vcc_lo
	v_cmp_ne_u32_e32 vcc_lo, 4, v25
	;; [unrolled: 3-line block ×3, first 2 shown]
	v_or_b32_sdwa v44, v48, v44 dst_sel:DWORD dst_unused:UNUSED_PAD src0_sel:BYTE_0 src1_sel:DWORD
	v_cndmask_b32_e32 v47, 9, v47, vcc_lo
	v_cmp_ne_u32_e32 vcc_lo, 10, v25
	v_or_b32_sdwa v45, v47, v45 dst_sel:WORD_1 dst_unused:UNUSED_PAD src0_sel:BYTE_0 src1_sel:DWORD
	v_cndmask_b32_e32 v46, 9, v46, vcc_lo
	v_bfe_u32 v47, v18, 9, 1
	v_cmp_eq_u32_e32 vcc_lo, 0, v40
	v_or_b32_sdwa v40, v44, v45 dst_sel:DWORD dst_unused:UNUSED_PAD src0_sel:WORD_0 src1_sel:DWORD
	v_add_nc_u32_e32 v25, v25, v47
	v_cndmask_b32_e32 v21, v26, v21, vcc_lo
	v_or_b32_sdwa v26, v46, v41 dst_sel:WORD_1 dst_unused:UNUSED_PAD src0_sel:BYTE_0 src1_sel:DWORD
	v_cndmask_b32_e32 v23, v40, v23, vcc_lo
	v_cndmask_b32_e32 v19, v28, v19, vcc_lo
	v_cmp_ne_u32_e64 s4, 1, v25
	v_lshrrev_b32_e32 v41, 8, v21
	v_lshrrev_b32_e32 v42, 24, v21
	v_or_b32_sdwa v26, v43, v26 dst_sel:DWORD dst_unused:UNUSED_PAD src0_sel:WORD_0 src1_sel:DWORD
	v_cndmask_b32_e32 v20, v29, v20, vcc_lo
	v_cndmask_b32_e32 v22, v27, v22, vcc_lo
	v_cndmask_b32_e64 v40, 10, v41, s4
	v_cmp_ne_u32_e64 s4, 3, v25
	v_cndmask_b32_e32 v24, v26, v24, vcc_lo
	v_lshrrev_b32_e32 v27, 8, v19
	v_cmp_ne_u32_e32 vcc_lo, 21, v25
	v_lshlrev_b16 v40, 8, v40
	v_cndmask_b32_e64 v41, 10, v42, s4
	v_cmp_ne_u32_e64 s4, 0, v25
	v_lshrrev_b32_e32 v42, 16, v21
	v_cndmask_b32_e32 v27, 10, v27, vcc_lo
	v_cmp_ne_u32_e32 vcc_lo, 23, v25
	v_lshlrev_b16 v41, 8, v41
	v_cndmask_b32_e64 v43, 10, v21, s4
	v_cmp_ne_u32_e64 s4, 2, v25
	v_and_b32_e32 v29, 0x400, v18
	v_lshlrev_b16 v27, 8, v27
	v_lshrrev_b32_e32 v44, 24, v20
	v_or_b32_sdwa v26, v43, v40 dst_sel:DWORD dst_unused:UNUSED_PAD src0_sel:BYTE_0 src1_sel:DWORD
	v_cndmask_b32_e64 v42, 10, v42, s4
	v_lshrrev_b32_e32 v40, 24, v19
	v_cmp_ne_u32_e64 s4, 17, v25
	v_lshrrev_b32_e32 v43, 16, v22
	v_lshrrev_b32_e32 v47, 16, v24
	v_or_b32_sdwa v28, v42, v41 dst_sel:WORD_1 dst_unused:UNUSED_PAD src0_sel:BYTE_0 src1_sel:DWORD
	v_lshrrev_b32_e32 v42, 8, v20
	v_lshrrev_b32_e32 v48, 8, v23
	;; [unrolled: 1-line block ×4, first 2 shown]
	v_or_b32_sdwa v26, v26, v28 dst_sel:DWORD dst_unused:UNUSED_PAD src0_sel:WORD_0 src1_sel:DWORD
	v_cndmask_b32_e32 v28, 10, v40, vcc_lo
	v_cmp_ne_u32_e32 vcc_lo, 20, v25
	v_lshrrev_b32_e32 v40, 16, v19
	v_lshlrev_b16 v28, 8, v28
	v_cndmask_b32_e32 v41, 10, v19, vcc_lo
	v_cmp_ne_u32_e32 vcc_lo, 22, v25
	v_or_b32_sdwa v27, v41, v27 dst_sel:DWORD dst_unused:UNUSED_PAD src0_sel:BYTE_0 src1_sel:DWORD
	v_cndmask_b32_e32 v40, 10, v40, vcc_lo
	v_cmp_eq_u32_e32 vcc_lo, 0, v29
	v_lshrrev_b32_e32 v29, 8, v22
	v_lshrrev_b32_e32 v41, 24, v22
	v_or_b32_sdwa v28, v40, v28 dst_sel:WORD_1 dst_unused:UNUSED_PAD src0_sel:BYTE_0 src1_sel:DWORD
	v_cndmask_b32_e32 v21, v26, v21, vcc_lo
	v_cndmask_b32_e64 v29, 10, v29, s4
	v_cmp_ne_u32_e64 s4, 19, v25
	v_or_b32_sdwa v27, v27, v28 dst_sel:DWORD dst_unused:UNUSED_PAD src0_sel:WORD_0 src1_sel:DWORD
	v_lshrrev_b32_e32 v26, 8, v21
	v_lshlrev_b16 v29, 8, v29
	v_cndmask_b32_e64 v40, 10, v41, s4
	v_cmp_ne_u32_e64 s4, 16, v25
	v_cndmask_b32_e32 v19, v27, v19, vcc_lo
	v_lshlrev_b16 v40, 8, v40
	v_cndmask_b32_e64 v41, 10, v22, s4
	v_cmp_ne_u32_e64 s4, 13, v25
	v_or_b32_sdwa v29, v41, v29 dst_sel:DWORD dst_unused:UNUSED_PAD src0_sel:BYTE_0 src1_sel:DWORD
	v_cndmask_b32_e64 v42, 10, v42, s4
	v_cmp_ne_u32_e64 s4, 18, v25
	v_lshlrev_b16 v42, 8, v42
	v_cndmask_b32_e64 v43, 10, v43, s4
	v_cmp_ne_u32_e64 s4, 12, v25
	v_or_b32_sdwa v40, v43, v40 dst_sel:WORD_1 dst_unused:UNUSED_PAD src0_sel:BYTE_0 src1_sel:DWORD
	v_cndmask_b32_e64 v45, 10, v20, s4
	v_cmp_ne_u32_e64 s4, 15, v25
	v_or_b32_sdwa v28, v29, v40 dst_sel:DWORD dst_unused:UNUSED_PAD src0_sel:WORD_0 src1_sel:DWORD
	v_or_b32_sdwa v41, v45, v42 dst_sel:DWORD dst_unused:UNUSED_PAD src0_sel:BYTE_0 src1_sel:DWORD
	v_cndmask_b32_e64 v44, 10, v44, s4
	v_lshrrev_b32_e32 v42, 8, v24
	v_cmp_ne_u32_e64 s4, 9, v25
	v_lshrrev_b32_e32 v45, 16, v20
	v_cndmask_b32_e32 v22, v28, v22, vcc_lo
	v_lshlrev_b16 v43, 8, v44
	v_lshrrev_b32_e32 v44, 24, v24
	v_cndmask_b32_e64 v42, 10, v42, s4
	v_cmp_ne_u32_e64 s4, 11, v25
	v_lshrrev_b32_e32 v28, 24, v21
	v_lshlrev_b16 v42, 8, v42
	v_cndmask_b32_e64 v44, 10, v44, s4
	v_cmp_ne_u32_e64 s4, 8, v25
	v_lshlrev_b16 v44, 8, v44
	v_cndmask_b32_e64 v46, 10, v24, s4
	v_cmp_ne_u32_e64 s4, 10, v25
	v_or_b32_sdwa v42, v46, v42 dst_sel:DWORD dst_unused:UNUSED_PAD src0_sel:BYTE_0 src1_sel:DWORD
	v_cndmask_b32_e64 v47, 10, v47, s4
	v_cmp_ne_u32_e64 s4, 5, v25
	v_or_b32_sdwa v44, v47, v44 dst_sel:WORD_1 dst_unused:UNUSED_PAD src0_sel:BYTE_0 src1_sel:DWORD
	v_cndmask_b32_e64 v48, 10, v48, s4
	v_cmp_ne_u32_e64 s4, 7, v25
	v_or_b32_sdwa v40, v42, v44 dst_sel:DWORD dst_unused:UNUSED_PAD src0_sel:WORD_0 src1_sel:DWORD
	v_lshlrev_b16 v48, 8, v48
	v_cndmask_b32_e64 v49, 10, v49, s4
	v_cmp_ne_u32_e64 s4, 4, v25
	v_bfe_u32 v42, v18, 10, 1
	v_cndmask_b32_e32 v24, v40, v24, vcc_lo
	v_and_b32_e32 v40, 0x800, v18
	v_lshlrev_b16 v49, 8, v49
	v_cndmask_b32_e64 v51, 10, v23, s4
	v_cmp_ne_u32_e64 s4, 6, v25
	v_lshrrev_b32_e32 v44, 8, v24
	v_or_b32_sdwa v46, v51, v48 dst_sel:DWORD dst_unused:UNUSED_PAD src0_sel:BYTE_0 src1_sel:DWORD
	v_cndmask_b32_e64 v50, 10, v50, s4
	v_cmp_ne_u32_e64 s4, 14, v25
	v_add_nc_u32_e32 v25, v25, v42
	v_or_b32_sdwa v48, v50, v49 dst_sel:WORD_1 dst_unused:UNUSED_PAD src0_sel:BYTE_0 src1_sel:DWORD
	v_cndmask_b32_e64 v45, 10, v45, s4
	v_or_b32_sdwa v29, v46, v48 dst_sel:DWORD dst_unused:UNUSED_PAD src0_sel:WORD_0 src1_sel:DWORD
	v_or_b32_sdwa v43, v45, v43 dst_sel:WORD_1 dst_unused:UNUSED_PAD src0_sel:BYTE_0 src1_sel:DWORD
	v_cndmask_b32_e32 v23, v29, v23, vcc_lo
	v_or_b32_sdwa v41, v41, v43 dst_sel:DWORD dst_unused:UNUSED_PAD src0_sel:WORD_0 src1_sel:DWORD
	v_lshrrev_b32_e32 v47, 16, v23
	v_cndmask_b32_e32 v20, v41, v20, vcc_lo
	v_cmp_ne_u32_e32 vcc_lo, 1, v25
	v_lshrrev_b32_e32 v41, 8, v19
	v_lshrrev_b32_e32 v45, 16, v20
	v_cndmask_b32_e32 v26, 11, v26, vcc_lo
	v_cmp_ne_u32_e32 vcc_lo, 3, v25
	v_lshlrev_b16 v26, 8, v26
	v_cndmask_b32_e32 v27, 11, v28, vcc_lo
	v_cmp_ne_u32_e32 vcc_lo, 0, v25
	v_lshrrev_b32_e32 v28, 16, v21
	v_lshlrev_b16 v27, 8, v27
	v_cndmask_b32_e32 v29, 11, v21, vcc_lo
	v_cmp_ne_u32_e32 vcc_lo, 2, v25
	v_or_b32_sdwa v26, v29, v26 dst_sel:DWORD dst_unused:UNUSED_PAD src0_sel:BYTE_0 src1_sel:DWORD
	v_cndmask_b32_e32 v28, 11, v28, vcc_lo
	v_cmp_ne_u32_e32 vcc_lo, 21, v25
	v_lshrrev_b32_e32 v29, 24, v19
	v_or_b32_sdwa v27, v28, v27 dst_sel:WORD_1 dst_unused:UNUSED_PAD src0_sel:BYTE_0 src1_sel:DWORD
	v_cndmask_b32_e32 v28, 11, v41, vcc_lo
	v_cmp_ne_u32_e32 vcc_lo, 23, v25
	v_lshrrev_b32_e32 v41, 16, v19
	v_or_b32_sdwa v26, v26, v27 dst_sel:DWORD dst_unused:UNUSED_PAD src0_sel:WORD_0 src1_sel:DWORD
	v_lshlrev_b16 v28, 8, v28
	v_cndmask_b32_e32 v29, 11, v29, vcc_lo
	v_cmp_ne_u32_e32 vcc_lo, 20, v25
	v_lshrrev_b32_e32 v27, 8, v22
	v_lshlrev_b16 v29, 8, v29
	v_cndmask_b32_e32 v42, 11, v19, vcc_lo
	v_cmp_ne_u32_e32 vcc_lo, 22, v25
	v_or_b32_sdwa v28, v42, v28 dst_sel:DWORD dst_unused:UNUSED_PAD src0_sel:BYTE_0 src1_sel:DWORD
	v_cndmask_b32_e32 v41, 11, v41, vcc_lo
	v_cmp_ne_u32_e32 vcc_lo, 17, v25
	v_lshrrev_b32_e32 v42, 24, v22
	v_or_b32_sdwa v29, v41, v29 dst_sel:WORD_1 dst_unused:UNUSED_PAD src0_sel:BYTE_0 src1_sel:DWORD
	v_cndmask_b32_e32 v27, 11, v27, vcc_lo
	v_cmp_ne_u32_e32 vcc_lo, 19, v25
	v_or_b32_sdwa v28, v28, v29 dst_sel:DWORD dst_unused:UNUSED_PAD src0_sel:WORD_0 src1_sel:DWORD
	v_lshlrev_b16 v27, 8, v27
	v_cndmask_b32_e32 v41, 11, v42, vcc_lo
	v_cmp_ne_u32_e32 vcc_lo, 16, v25
	v_lshrrev_b32_e32 v42, 16, v22
	v_lshrrev_b32_e32 v29, 8, v20
	v_lshlrev_b16 v41, 8, v41
	v_cndmask_b32_e32 v43, 11, v22, vcc_lo
	v_cmp_ne_u32_e32 vcc_lo, 18, v25
	v_or_b32_sdwa v27, v43, v27 dst_sel:DWORD dst_unused:UNUSED_PAD src0_sel:BYTE_0 src1_sel:DWORD
	v_cndmask_b32_e32 v42, 11, v42, vcc_lo
	v_cmp_ne_u32_e32 vcc_lo, 13, v25
	v_lshrrev_b32_e32 v43, 24, v20
	v_or_b32_sdwa v41, v42, v41 dst_sel:WORD_1 dst_unused:UNUSED_PAD src0_sel:BYTE_0 src1_sel:DWORD
	v_cndmask_b32_e32 v29, 11, v29, vcc_lo
	v_cmp_ne_u32_e32 vcc_lo, 15, v25
	v_or_b32_sdwa v27, v27, v41 dst_sel:DWORD dst_unused:UNUSED_PAD src0_sel:WORD_0 src1_sel:DWORD
	v_lshlrev_b16 v29, 8, v29
	v_cndmask_b32_e32 v42, 11, v43, vcc_lo
	v_cmp_ne_u32_e32 vcc_lo, 12, v25
	v_lshrrev_b32_e32 v41, 24, v24
	v_lshlrev_b16 v42, 8, v42
	v_cndmask_b32_e32 v43, 11, v20, vcc_lo
	v_cmp_ne_u32_e32 vcc_lo, 9, v25
	v_or_b32_sdwa v29, v43, v29 dst_sel:DWORD dst_unused:UNUSED_PAD src0_sel:BYTE_0 src1_sel:DWORD
	v_cndmask_b32_e32 v44, 11, v44, vcc_lo
	v_cmp_ne_u32_e32 vcc_lo, 14, v25
	v_lshlrev_b16 v44, 8, v44
	v_cndmask_b32_e32 v45, 11, v45, vcc_lo
	v_cmp_ne_u32_e32 vcc_lo, 8, v25
	v_or_b32_sdwa v42, v45, v42 dst_sel:WORD_1 dst_unused:UNUSED_PAD src0_sel:BYTE_0 src1_sel:DWORD
	v_cndmask_b32_e32 v46, 11, v24, vcc_lo
	v_cmp_ne_u32_e32 vcc_lo, 11, v25
	v_lshrrev_b32_e32 v45, 24, v23
	v_or_b32_sdwa v29, v29, v42 dst_sel:DWORD dst_unused:UNUSED_PAD src0_sel:WORD_0 src1_sel:DWORD
	v_or_b32_sdwa v43, v46, v44 dst_sel:DWORD dst_unused:UNUSED_PAD src0_sel:BYTE_0 src1_sel:DWORD
	v_lshrrev_b32_e32 v44, 8, v23
	v_cndmask_b32_e32 v41, 11, v41, vcc_lo
	v_cmp_ne_u32_e32 vcc_lo, 5, v25
	v_lshrrev_b32_e32 v46, 16, v24
	v_lshlrev_b16 v41, 8, v41
	v_cndmask_b32_e32 v44, 11, v44, vcc_lo
	v_cmp_ne_u32_e32 vcc_lo, 7, v25
	v_lshlrev_b16 v44, 8, v44
	v_cndmask_b32_e32 v45, 11, v45, vcc_lo
	v_cmp_ne_u32_e32 vcc_lo, 4, v25
	;; [unrolled: 3-line block ×3, first 2 shown]
	v_or_b32_sdwa v44, v48, v44 dst_sel:DWORD dst_unused:UNUSED_PAD src0_sel:BYTE_0 src1_sel:DWORD
	v_cndmask_b32_e32 v47, 11, v47, vcc_lo
	v_cmp_ne_u32_e32 vcc_lo, 10, v25
	v_or_b32_sdwa v45, v47, v45 dst_sel:WORD_1 dst_unused:UNUSED_PAD src0_sel:BYTE_0 src1_sel:DWORD
	v_cndmask_b32_e32 v46, 11, v46, vcc_lo
	v_bfe_u32 v47, v18, 11, 1
	v_cmp_eq_u32_e32 vcc_lo, 0, v40
	v_or_b32_sdwa v40, v44, v45 dst_sel:DWORD dst_unused:UNUSED_PAD src0_sel:WORD_0 src1_sel:DWORD
	v_add_nc_u32_e32 v25, v25, v47
	v_cndmask_b32_e32 v21, v26, v21, vcc_lo
	v_or_b32_sdwa v26, v46, v41 dst_sel:WORD_1 dst_unused:UNUSED_PAD src0_sel:BYTE_0 src1_sel:DWORD
	v_cndmask_b32_e32 v23, v40, v23, vcc_lo
	v_cndmask_b32_e32 v19, v28, v19, vcc_lo
	v_cmp_ne_u32_e64 s4, 1, v25
	v_lshrrev_b32_e32 v41, 8, v21
	v_lshrrev_b32_e32 v42, 24, v21
	v_or_b32_sdwa v26, v43, v26 dst_sel:DWORD dst_unused:UNUSED_PAD src0_sel:WORD_0 src1_sel:DWORD
	v_cndmask_b32_e32 v20, v29, v20, vcc_lo
	v_cndmask_b32_e32 v22, v27, v22, vcc_lo
	v_cndmask_b32_e64 v40, 12, v41, s4
	v_cmp_ne_u32_e64 s4, 3, v25
	v_cndmask_b32_e32 v24, v26, v24, vcc_lo
	v_lshrrev_b32_e32 v27, 8, v19
	v_cmp_ne_u32_e32 vcc_lo, 21, v25
	v_lshlrev_b16 v40, 8, v40
	v_cndmask_b32_e64 v41, 12, v42, s4
	v_cmp_ne_u32_e64 s4, 0, v25
	v_lshrrev_b32_e32 v42, 16, v21
	v_cndmask_b32_e32 v27, 12, v27, vcc_lo
	v_cmp_ne_u32_e32 vcc_lo, 23, v25
	v_lshlrev_b16 v41, 8, v41
	v_cndmask_b32_e64 v43, 12, v21, s4
	v_cmp_ne_u32_e64 s4, 2, v25
	v_and_b32_e32 v29, 0x1000, v18
	v_lshlrev_b16 v27, 8, v27
	v_lshrrev_b32_e32 v44, 24, v20
	v_or_b32_sdwa v26, v43, v40 dst_sel:DWORD dst_unused:UNUSED_PAD src0_sel:BYTE_0 src1_sel:DWORD
	v_cndmask_b32_e64 v42, 12, v42, s4
	v_lshrrev_b32_e32 v40, 24, v19
	v_cmp_ne_u32_e64 s4, 17, v25
	v_lshrrev_b32_e32 v43, 16, v22
	v_lshrrev_b32_e32 v47, 16, v24
	v_or_b32_sdwa v28, v42, v41 dst_sel:WORD_1 dst_unused:UNUSED_PAD src0_sel:BYTE_0 src1_sel:DWORD
	v_lshrrev_b32_e32 v42, 8, v20
	v_lshrrev_b32_e32 v48, 8, v23
	;; [unrolled: 1-line block ×4, first 2 shown]
	v_or_b32_sdwa v26, v26, v28 dst_sel:DWORD dst_unused:UNUSED_PAD src0_sel:WORD_0 src1_sel:DWORD
	v_cndmask_b32_e32 v28, 12, v40, vcc_lo
	v_cmp_ne_u32_e32 vcc_lo, 20, v25
	v_lshrrev_b32_e32 v40, 16, v19
	v_lshlrev_b16 v28, 8, v28
	v_cndmask_b32_e32 v41, 12, v19, vcc_lo
	v_cmp_ne_u32_e32 vcc_lo, 22, v25
	v_or_b32_sdwa v27, v41, v27 dst_sel:DWORD dst_unused:UNUSED_PAD src0_sel:BYTE_0 src1_sel:DWORD
	v_cndmask_b32_e32 v40, 12, v40, vcc_lo
	v_cmp_eq_u32_e32 vcc_lo, 0, v29
	v_lshrrev_b32_e32 v29, 8, v22
	v_lshrrev_b32_e32 v41, 24, v22
	v_or_b32_sdwa v28, v40, v28 dst_sel:WORD_1 dst_unused:UNUSED_PAD src0_sel:BYTE_0 src1_sel:DWORD
	v_cndmask_b32_e32 v21, v26, v21, vcc_lo
	v_cndmask_b32_e64 v29, 12, v29, s4
	v_cmp_ne_u32_e64 s4, 19, v25
	v_or_b32_sdwa v27, v27, v28 dst_sel:DWORD dst_unused:UNUSED_PAD src0_sel:WORD_0 src1_sel:DWORD
	v_lshrrev_b32_e32 v26, 8, v21
	v_lshlrev_b16 v29, 8, v29
	v_cndmask_b32_e64 v40, 12, v41, s4
	v_cmp_ne_u32_e64 s4, 16, v25
	v_cndmask_b32_e32 v19, v27, v19, vcc_lo
	v_lshlrev_b16 v40, 8, v40
	v_cndmask_b32_e64 v41, 12, v22, s4
	v_cmp_ne_u32_e64 s4, 13, v25
	v_or_b32_sdwa v29, v41, v29 dst_sel:DWORD dst_unused:UNUSED_PAD src0_sel:BYTE_0 src1_sel:DWORD
	v_cndmask_b32_e64 v42, 12, v42, s4
	v_cmp_ne_u32_e64 s4, 18, v25
	v_lshlrev_b16 v42, 8, v42
	v_cndmask_b32_e64 v43, 12, v43, s4
	v_cmp_ne_u32_e64 s4, 12, v25
	v_or_b32_sdwa v40, v43, v40 dst_sel:WORD_1 dst_unused:UNUSED_PAD src0_sel:BYTE_0 src1_sel:DWORD
	v_cndmask_b32_e64 v45, 12, v20, s4
	v_cmp_ne_u32_e64 s4, 15, v25
	v_or_b32_sdwa v28, v29, v40 dst_sel:DWORD dst_unused:UNUSED_PAD src0_sel:WORD_0 src1_sel:DWORD
	v_or_b32_sdwa v41, v45, v42 dst_sel:DWORD dst_unused:UNUSED_PAD src0_sel:BYTE_0 src1_sel:DWORD
	v_cndmask_b32_e64 v44, 12, v44, s4
	v_lshrrev_b32_e32 v42, 8, v24
	v_cmp_ne_u32_e64 s4, 9, v25
	v_lshrrev_b32_e32 v45, 16, v20
	v_cndmask_b32_e32 v22, v28, v22, vcc_lo
	v_lshlrev_b16 v43, 8, v44
	v_lshrrev_b32_e32 v44, 24, v24
	v_cndmask_b32_e64 v42, 12, v42, s4
	v_cmp_ne_u32_e64 s4, 11, v25
	v_lshrrev_b32_e32 v28, 24, v21
	v_lshlrev_b16 v42, 8, v42
	v_cndmask_b32_e64 v44, 12, v44, s4
	v_cmp_ne_u32_e64 s4, 8, v25
	v_lshlrev_b16 v44, 8, v44
	v_cndmask_b32_e64 v46, 12, v24, s4
	v_cmp_ne_u32_e64 s4, 10, v25
	v_or_b32_sdwa v42, v46, v42 dst_sel:DWORD dst_unused:UNUSED_PAD src0_sel:BYTE_0 src1_sel:DWORD
	v_cndmask_b32_e64 v47, 12, v47, s4
	v_cmp_ne_u32_e64 s4, 5, v25
	v_or_b32_sdwa v44, v47, v44 dst_sel:WORD_1 dst_unused:UNUSED_PAD src0_sel:BYTE_0 src1_sel:DWORD
	v_cndmask_b32_e64 v48, 12, v48, s4
	v_cmp_ne_u32_e64 s4, 7, v25
	v_or_b32_sdwa v40, v42, v44 dst_sel:DWORD dst_unused:UNUSED_PAD src0_sel:WORD_0 src1_sel:DWORD
	v_lshlrev_b16 v48, 8, v48
	v_cndmask_b32_e64 v49, 12, v49, s4
	v_cmp_ne_u32_e64 s4, 4, v25
	v_bfe_u32 v42, v18, 12, 1
	v_cndmask_b32_e32 v24, v40, v24, vcc_lo
	v_and_b32_e32 v40, 0x2000, v18
	v_lshlrev_b16 v49, 8, v49
	v_cndmask_b32_e64 v51, 12, v23, s4
	v_cmp_ne_u32_e64 s4, 6, v25
	v_lshrrev_b32_e32 v44, 8, v24
	v_or_b32_sdwa v46, v51, v48 dst_sel:DWORD dst_unused:UNUSED_PAD src0_sel:BYTE_0 src1_sel:DWORD
	v_cndmask_b32_e64 v50, 12, v50, s4
	v_cmp_ne_u32_e64 s4, 14, v25
	v_add_nc_u32_e32 v25, v25, v42
	v_or_b32_sdwa v48, v50, v49 dst_sel:WORD_1 dst_unused:UNUSED_PAD src0_sel:BYTE_0 src1_sel:DWORD
	v_cndmask_b32_e64 v45, 12, v45, s4
	v_or_b32_sdwa v29, v46, v48 dst_sel:DWORD dst_unused:UNUSED_PAD src0_sel:WORD_0 src1_sel:DWORD
	v_or_b32_sdwa v43, v45, v43 dst_sel:WORD_1 dst_unused:UNUSED_PAD src0_sel:BYTE_0 src1_sel:DWORD
	v_cndmask_b32_e32 v23, v29, v23, vcc_lo
	v_or_b32_sdwa v41, v41, v43 dst_sel:DWORD dst_unused:UNUSED_PAD src0_sel:WORD_0 src1_sel:DWORD
	v_lshrrev_b32_e32 v47, 16, v23
	v_cndmask_b32_e32 v20, v41, v20, vcc_lo
	v_cmp_ne_u32_e32 vcc_lo, 1, v25
	v_lshrrev_b32_e32 v41, 8, v19
	v_lshrrev_b32_e32 v45, 16, v20
	v_cndmask_b32_e32 v26, 13, v26, vcc_lo
	v_cmp_ne_u32_e32 vcc_lo, 3, v25
	v_lshlrev_b16 v26, 8, v26
	v_cndmask_b32_e32 v27, 13, v28, vcc_lo
	v_cmp_ne_u32_e32 vcc_lo, 0, v25
	v_lshrrev_b32_e32 v28, 16, v21
	v_lshlrev_b16 v27, 8, v27
	v_cndmask_b32_e32 v29, 13, v21, vcc_lo
	v_cmp_ne_u32_e32 vcc_lo, 2, v25
	v_or_b32_sdwa v26, v29, v26 dst_sel:DWORD dst_unused:UNUSED_PAD src0_sel:BYTE_0 src1_sel:DWORD
	v_cndmask_b32_e32 v28, 13, v28, vcc_lo
	v_cmp_ne_u32_e32 vcc_lo, 21, v25
	v_lshrrev_b32_e32 v29, 24, v19
	v_or_b32_sdwa v27, v28, v27 dst_sel:WORD_1 dst_unused:UNUSED_PAD src0_sel:BYTE_0 src1_sel:DWORD
	v_cndmask_b32_e32 v28, 13, v41, vcc_lo
	v_cmp_ne_u32_e32 vcc_lo, 23, v25
	v_lshrrev_b32_e32 v41, 16, v19
	v_or_b32_sdwa v26, v26, v27 dst_sel:DWORD dst_unused:UNUSED_PAD src0_sel:WORD_0 src1_sel:DWORD
	v_lshlrev_b16 v28, 8, v28
	v_cndmask_b32_e32 v29, 13, v29, vcc_lo
	v_cmp_ne_u32_e32 vcc_lo, 20, v25
	v_lshrrev_b32_e32 v27, 8, v22
	v_lshlrev_b16 v29, 8, v29
	v_cndmask_b32_e32 v42, 13, v19, vcc_lo
	v_cmp_ne_u32_e32 vcc_lo, 22, v25
	v_or_b32_sdwa v28, v42, v28 dst_sel:DWORD dst_unused:UNUSED_PAD src0_sel:BYTE_0 src1_sel:DWORD
	v_cndmask_b32_e32 v41, 13, v41, vcc_lo
	v_cmp_ne_u32_e32 vcc_lo, 17, v25
	v_lshrrev_b32_e32 v42, 24, v22
	v_or_b32_sdwa v29, v41, v29 dst_sel:WORD_1 dst_unused:UNUSED_PAD src0_sel:BYTE_0 src1_sel:DWORD
	v_cndmask_b32_e32 v27, 13, v27, vcc_lo
	v_cmp_ne_u32_e32 vcc_lo, 19, v25
	v_or_b32_sdwa v28, v28, v29 dst_sel:DWORD dst_unused:UNUSED_PAD src0_sel:WORD_0 src1_sel:DWORD
	v_lshlrev_b16 v27, 8, v27
	v_cndmask_b32_e32 v41, 13, v42, vcc_lo
	v_cmp_ne_u32_e32 vcc_lo, 16, v25
	v_lshrrev_b32_e32 v42, 16, v22
	v_lshrrev_b32_e32 v29, 8, v20
	v_lshlrev_b16 v41, 8, v41
	v_cndmask_b32_e32 v43, 13, v22, vcc_lo
	v_cmp_ne_u32_e32 vcc_lo, 18, v25
	v_or_b32_sdwa v27, v43, v27 dst_sel:DWORD dst_unused:UNUSED_PAD src0_sel:BYTE_0 src1_sel:DWORD
	v_cndmask_b32_e32 v42, 13, v42, vcc_lo
	v_cmp_ne_u32_e32 vcc_lo, 13, v25
	v_lshrrev_b32_e32 v43, 24, v20
	v_or_b32_sdwa v41, v42, v41 dst_sel:WORD_1 dst_unused:UNUSED_PAD src0_sel:BYTE_0 src1_sel:DWORD
	v_cndmask_b32_e32 v29, 13, v29, vcc_lo
	v_cmp_ne_u32_e32 vcc_lo, 15, v25
	v_or_b32_sdwa v27, v27, v41 dst_sel:DWORD dst_unused:UNUSED_PAD src0_sel:WORD_0 src1_sel:DWORD
	v_lshlrev_b16 v29, 8, v29
	v_cndmask_b32_e32 v42, 13, v43, vcc_lo
	v_cmp_ne_u32_e32 vcc_lo, 12, v25
	v_lshrrev_b32_e32 v41, 24, v24
	v_lshlrev_b16 v42, 8, v42
	v_cndmask_b32_e32 v43, 13, v20, vcc_lo
	v_cmp_ne_u32_e32 vcc_lo, 9, v25
	v_or_b32_sdwa v29, v43, v29 dst_sel:DWORD dst_unused:UNUSED_PAD src0_sel:BYTE_0 src1_sel:DWORD
	v_cndmask_b32_e32 v44, 13, v44, vcc_lo
	v_cmp_ne_u32_e32 vcc_lo, 14, v25
	v_lshlrev_b16 v44, 8, v44
	v_cndmask_b32_e32 v45, 13, v45, vcc_lo
	v_cmp_ne_u32_e32 vcc_lo, 8, v25
	v_or_b32_sdwa v42, v45, v42 dst_sel:WORD_1 dst_unused:UNUSED_PAD src0_sel:BYTE_0 src1_sel:DWORD
	v_cndmask_b32_e32 v46, 13, v24, vcc_lo
	v_cmp_ne_u32_e32 vcc_lo, 11, v25
	v_lshrrev_b32_e32 v45, 24, v23
	v_or_b32_sdwa v29, v29, v42 dst_sel:DWORD dst_unused:UNUSED_PAD src0_sel:WORD_0 src1_sel:DWORD
	v_or_b32_sdwa v43, v46, v44 dst_sel:DWORD dst_unused:UNUSED_PAD src0_sel:BYTE_0 src1_sel:DWORD
	v_lshrrev_b32_e32 v44, 8, v23
	v_cndmask_b32_e32 v41, 13, v41, vcc_lo
	v_cmp_ne_u32_e32 vcc_lo, 5, v25
	v_lshrrev_b32_e32 v46, 16, v24
	v_lshlrev_b16 v41, 8, v41
	v_cndmask_b32_e32 v44, 13, v44, vcc_lo
	v_cmp_ne_u32_e32 vcc_lo, 7, v25
	v_lshlrev_b16 v44, 8, v44
	v_cndmask_b32_e32 v45, 13, v45, vcc_lo
	v_cmp_ne_u32_e32 vcc_lo, 4, v25
	;; [unrolled: 3-line block ×3, first 2 shown]
	v_or_b32_sdwa v44, v48, v44 dst_sel:DWORD dst_unused:UNUSED_PAD src0_sel:BYTE_0 src1_sel:DWORD
	v_cndmask_b32_e32 v47, 13, v47, vcc_lo
	v_cmp_ne_u32_e32 vcc_lo, 10, v25
	v_or_b32_sdwa v45, v47, v45 dst_sel:WORD_1 dst_unused:UNUSED_PAD src0_sel:BYTE_0 src1_sel:DWORD
	v_cndmask_b32_e32 v46, 13, v46, vcc_lo
	v_bfe_u32 v47, v18, 13, 1
	v_cmp_eq_u32_e32 vcc_lo, 0, v40
	v_or_b32_sdwa v40, v44, v45 dst_sel:DWORD dst_unused:UNUSED_PAD src0_sel:WORD_0 src1_sel:DWORD
	v_add_nc_u32_e32 v25, v25, v47
	v_cndmask_b32_e32 v21, v26, v21, vcc_lo
	v_or_b32_sdwa v26, v46, v41 dst_sel:WORD_1 dst_unused:UNUSED_PAD src0_sel:BYTE_0 src1_sel:DWORD
	v_cndmask_b32_e32 v23, v40, v23, vcc_lo
	v_cndmask_b32_e32 v19, v28, v19, vcc_lo
	v_cmp_ne_u32_e64 s4, 1, v25
	v_lshrrev_b32_e32 v41, 8, v21
	v_lshrrev_b32_e32 v42, 24, v21
	v_or_b32_sdwa v26, v43, v26 dst_sel:DWORD dst_unused:UNUSED_PAD src0_sel:WORD_0 src1_sel:DWORD
	v_cndmask_b32_e32 v20, v29, v20, vcc_lo
	v_cndmask_b32_e32 v22, v27, v22, vcc_lo
	v_cndmask_b32_e64 v40, 14, v41, s4
	v_cmp_ne_u32_e64 s4, 3, v25
	v_cndmask_b32_e32 v24, v26, v24, vcc_lo
	v_lshrrev_b32_e32 v27, 8, v19
	v_cmp_ne_u32_e32 vcc_lo, 21, v25
	v_lshlrev_b16 v40, 8, v40
	v_cndmask_b32_e64 v41, 14, v42, s4
	v_cmp_ne_u32_e64 s4, 0, v25
	v_lshrrev_b32_e32 v42, 16, v21
	v_cndmask_b32_e32 v27, 14, v27, vcc_lo
	v_cmp_ne_u32_e32 vcc_lo, 23, v25
	v_lshlrev_b16 v41, 8, v41
	v_cndmask_b32_e64 v43, 14, v21, s4
	v_cmp_ne_u32_e64 s4, 2, v25
	v_and_b32_e32 v29, 0x4000, v18
	v_lshlrev_b16 v27, 8, v27
	v_lshrrev_b32_e32 v44, 24, v20
	v_or_b32_sdwa v26, v43, v40 dst_sel:DWORD dst_unused:UNUSED_PAD src0_sel:BYTE_0 src1_sel:DWORD
	v_cndmask_b32_e64 v42, 14, v42, s4
	v_lshrrev_b32_e32 v40, 24, v19
	v_cmp_ne_u32_e64 s4, 17, v25
	v_lshrrev_b32_e32 v43, 16, v22
	v_lshrrev_b32_e32 v47, 16, v24
	v_or_b32_sdwa v28, v42, v41 dst_sel:WORD_1 dst_unused:UNUSED_PAD src0_sel:BYTE_0 src1_sel:DWORD
	v_lshrrev_b32_e32 v42, 8, v20
	v_lshrrev_b32_e32 v48, 8, v23
	;; [unrolled: 1-line block ×4, first 2 shown]
	v_or_b32_sdwa v26, v26, v28 dst_sel:DWORD dst_unused:UNUSED_PAD src0_sel:WORD_0 src1_sel:DWORD
	v_cndmask_b32_e32 v28, 14, v40, vcc_lo
	v_cmp_ne_u32_e32 vcc_lo, 20, v25
	v_lshrrev_b32_e32 v40, 16, v19
	v_lshlrev_b16 v28, 8, v28
	v_cndmask_b32_e32 v41, 14, v19, vcc_lo
	v_cmp_ne_u32_e32 vcc_lo, 22, v25
	v_or_b32_sdwa v27, v41, v27 dst_sel:DWORD dst_unused:UNUSED_PAD src0_sel:BYTE_0 src1_sel:DWORD
	v_cndmask_b32_e32 v40, 14, v40, vcc_lo
	v_cmp_eq_u32_e32 vcc_lo, 0, v29
	v_lshrrev_b32_e32 v29, 8, v22
	v_lshrrev_b32_e32 v41, 24, v22
	v_or_b32_sdwa v28, v40, v28 dst_sel:WORD_1 dst_unused:UNUSED_PAD src0_sel:BYTE_0 src1_sel:DWORD
	v_cndmask_b32_e32 v21, v26, v21, vcc_lo
	v_cndmask_b32_e64 v29, 14, v29, s4
	v_cmp_ne_u32_e64 s4, 19, v25
	v_or_b32_sdwa v27, v27, v28 dst_sel:DWORD dst_unused:UNUSED_PAD src0_sel:WORD_0 src1_sel:DWORD
	v_lshrrev_b32_e32 v26, 8, v21
	v_lshlrev_b16 v29, 8, v29
	v_cndmask_b32_e64 v40, 14, v41, s4
	v_cmp_ne_u32_e64 s4, 16, v25
	v_cndmask_b32_e32 v19, v27, v19, vcc_lo
	v_lshlrev_b16 v40, 8, v40
	v_cndmask_b32_e64 v41, 14, v22, s4
	v_cmp_ne_u32_e64 s4, 13, v25
	v_or_b32_sdwa v29, v41, v29 dst_sel:DWORD dst_unused:UNUSED_PAD src0_sel:BYTE_0 src1_sel:DWORD
	v_cndmask_b32_e64 v42, 14, v42, s4
	v_cmp_ne_u32_e64 s4, 18, v25
	v_lshlrev_b16 v42, 8, v42
	v_cndmask_b32_e64 v43, 14, v43, s4
	v_cmp_ne_u32_e64 s4, 12, v25
	v_or_b32_sdwa v40, v43, v40 dst_sel:WORD_1 dst_unused:UNUSED_PAD src0_sel:BYTE_0 src1_sel:DWORD
	v_cndmask_b32_e64 v45, 14, v20, s4
	v_cmp_ne_u32_e64 s4, 15, v25
	v_or_b32_sdwa v28, v29, v40 dst_sel:DWORD dst_unused:UNUSED_PAD src0_sel:WORD_0 src1_sel:DWORD
	v_or_b32_sdwa v41, v45, v42 dst_sel:DWORD dst_unused:UNUSED_PAD src0_sel:BYTE_0 src1_sel:DWORD
	v_cndmask_b32_e64 v44, 14, v44, s4
	v_lshrrev_b32_e32 v42, 8, v24
	v_cmp_ne_u32_e64 s4, 9, v25
	v_lshrrev_b32_e32 v45, 16, v20
	v_cndmask_b32_e32 v22, v28, v22, vcc_lo
	v_lshlrev_b16 v43, 8, v44
	v_lshrrev_b32_e32 v44, 24, v24
	v_cndmask_b32_e64 v42, 14, v42, s4
	v_cmp_ne_u32_e64 s4, 11, v25
	v_lshrrev_b32_e32 v28, 24, v21
	v_lshlrev_b16 v42, 8, v42
	v_cndmask_b32_e64 v44, 14, v44, s4
	v_cmp_ne_u32_e64 s4, 8, v25
	v_lshlrev_b16 v44, 8, v44
	v_cndmask_b32_e64 v46, 14, v24, s4
	v_cmp_ne_u32_e64 s4, 10, v25
	v_or_b32_sdwa v42, v46, v42 dst_sel:DWORD dst_unused:UNUSED_PAD src0_sel:BYTE_0 src1_sel:DWORD
	v_cndmask_b32_e64 v47, 14, v47, s4
	v_cmp_ne_u32_e64 s4, 5, v25
	v_or_b32_sdwa v44, v47, v44 dst_sel:WORD_1 dst_unused:UNUSED_PAD src0_sel:BYTE_0 src1_sel:DWORD
	v_cndmask_b32_e64 v48, 14, v48, s4
	v_cmp_ne_u32_e64 s4, 7, v25
	v_or_b32_sdwa v40, v42, v44 dst_sel:DWORD dst_unused:UNUSED_PAD src0_sel:WORD_0 src1_sel:DWORD
	v_lshlrev_b16 v48, 8, v48
	v_cndmask_b32_e64 v49, 14, v49, s4
	v_cmp_ne_u32_e64 s4, 4, v25
	v_bfe_u32 v42, v18, 14, 1
	v_cndmask_b32_e32 v24, v40, v24, vcc_lo
	v_and_b32_e32 v40, 0x8000, v18
	v_lshlrev_b16 v49, 8, v49
	v_cndmask_b32_e64 v51, 14, v23, s4
	v_cmp_ne_u32_e64 s4, 6, v25
	v_lshrrev_b32_e32 v44, 8, v24
	v_or_b32_sdwa v46, v51, v48 dst_sel:DWORD dst_unused:UNUSED_PAD src0_sel:BYTE_0 src1_sel:DWORD
	v_cndmask_b32_e64 v50, 14, v50, s4
	v_cmp_ne_u32_e64 s4, 14, v25
	v_add_nc_u32_e32 v25, v25, v42
	v_or_b32_sdwa v48, v50, v49 dst_sel:WORD_1 dst_unused:UNUSED_PAD src0_sel:BYTE_0 src1_sel:DWORD
	v_cndmask_b32_e64 v45, 14, v45, s4
	v_or_b32_sdwa v29, v46, v48 dst_sel:DWORD dst_unused:UNUSED_PAD src0_sel:WORD_0 src1_sel:DWORD
	v_or_b32_sdwa v43, v45, v43 dst_sel:WORD_1 dst_unused:UNUSED_PAD src0_sel:BYTE_0 src1_sel:DWORD
	v_cndmask_b32_e32 v23, v29, v23, vcc_lo
	v_or_b32_sdwa v41, v41, v43 dst_sel:DWORD dst_unused:UNUSED_PAD src0_sel:WORD_0 src1_sel:DWORD
	v_lshrrev_b32_e32 v47, 16, v23
	v_cndmask_b32_e32 v20, v41, v20, vcc_lo
	v_cmp_ne_u32_e32 vcc_lo, 1, v25
	v_lshrrev_b32_e32 v41, 8, v19
	v_lshrrev_b32_e32 v45, 16, v20
	v_cndmask_b32_e32 v26, 15, v26, vcc_lo
	v_cmp_ne_u32_e32 vcc_lo, 3, v25
	v_lshlrev_b16 v26, 8, v26
	v_cndmask_b32_e32 v27, 15, v28, vcc_lo
	v_cmp_ne_u32_e32 vcc_lo, 0, v25
	v_lshrrev_b32_e32 v28, 16, v21
	v_lshlrev_b16 v27, 8, v27
	v_cndmask_b32_e32 v29, 15, v21, vcc_lo
	v_cmp_ne_u32_e32 vcc_lo, 2, v25
	v_or_b32_sdwa v26, v29, v26 dst_sel:DWORD dst_unused:UNUSED_PAD src0_sel:BYTE_0 src1_sel:DWORD
	v_cndmask_b32_e32 v28, 15, v28, vcc_lo
	v_cmp_ne_u32_e32 vcc_lo, 21, v25
	v_lshrrev_b32_e32 v29, 24, v19
	v_or_b32_sdwa v27, v28, v27 dst_sel:WORD_1 dst_unused:UNUSED_PAD src0_sel:BYTE_0 src1_sel:DWORD
	v_cndmask_b32_e32 v28, 15, v41, vcc_lo
	v_cmp_ne_u32_e32 vcc_lo, 23, v25
	v_lshrrev_b32_e32 v41, 16, v19
	v_or_b32_sdwa v26, v26, v27 dst_sel:DWORD dst_unused:UNUSED_PAD src0_sel:WORD_0 src1_sel:DWORD
	v_lshlrev_b16 v28, 8, v28
	v_cndmask_b32_e32 v29, 15, v29, vcc_lo
	v_cmp_ne_u32_e32 vcc_lo, 20, v25
	v_lshrrev_b32_e32 v27, 8, v22
	v_lshlrev_b16 v29, 8, v29
	v_cndmask_b32_e32 v42, 15, v19, vcc_lo
	v_cmp_ne_u32_e32 vcc_lo, 22, v25
	v_or_b32_sdwa v28, v42, v28 dst_sel:DWORD dst_unused:UNUSED_PAD src0_sel:BYTE_0 src1_sel:DWORD
	v_cndmask_b32_e32 v41, 15, v41, vcc_lo
	v_cmp_ne_u32_e32 vcc_lo, 17, v25
	v_lshrrev_b32_e32 v42, 24, v22
	v_or_b32_sdwa v29, v41, v29 dst_sel:WORD_1 dst_unused:UNUSED_PAD src0_sel:BYTE_0 src1_sel:DWORD
	v_cndmask_b32_e32 v27, 15, v27, vcc_lo
	v_cmp_ne_u32_e32 vcc_lo, 19, v25
	v_or_b32_sdwa v28, v28, v29 dst_sel:DWORD dst_unused:UNUSED_PAD src0_sel:WORD_0 src1_sel:DWORD
	v_lshlrev_b16 v27, 8, v27
	v_cndmask_b32_e32 v41, 15, v42, vcc_lo
	v_cmp_ne_u32_e32 vcc_lo, 16, v25
	v_lshrrev_b32_e32 v42, 16, v22
	v_lshrrev_b32_e32 v29, 8, v20
	v_lshlrev_b16 v41, 8, v41
	v_cndmask_b32_e32 v43, 15, v22, vcc_lo
	v_cmp_ne_u32_e32 vcc_lo, 18, v25
	v_or_b32_sdwa v27, v43, v27 dst_sel:DWORD dst_unused:UNUSED_PAD src0_sel:BYTE_0 src1_sel:DWORD
	v_cndmask_b32_e32 v42, 15, v42, vcc_lo
	v_cmp_ne_u32_e32 vcc_lo, 13, v25
	v_lshrrev_b32_e32 v43, 24, v20
	v_or_b32_sdwa v41, v42, v41 dst_sel:WORD_1 dst_unused:UNUSED_PAD src0_sel:BYTE_0 src1_sel:DWORD
	v_cndmask_b32_e32 v29, 15, v29, vcc_lo
	v_cmp_ne_u32_e32 vcc_lo, 15, v25
	v_or_b32_sdwa v27, v27, v41 dst_sel:DWORD dst_unused:UNUSED_PAD src0_sel:WORD_0 src1_sel:DWORD
	v_lshlrev_b16 v29, 8, v29
	v_cndmask_b32_e32 v42, 15, v43, vcc_lo
	v_cmp_ne_u32_e32 vcc_lo, 12, v25
	v_lshrrev_b32_e32 v41, 24, v24
	v_lshlrev_b16 v42, 8, v42
	v_cndmask_b32_e32 v43, 15, v20, vcc_lo
	v_cmp_ne_u32_e32 vcc_lo, 9, v25
	v_or_b32_sdwa v29, v43, v29 dst_sel:DWORD dst_unused:UNUSED_PAD src0_sel:BYTE_0 src1_sel:DWORD
	v_cndmask_b32_e32 v44, 15, v44, vcc_lo
	v_cmp_ne_u32_e32 vcc_lo, 14, v25
	v_lshlrev_b16 v44, 8, v44
	v_cndmask_b32_e32 v45, 15, v45, vcc_lo
	v_cmp_ne_u32_e32 vcc_lo, 8, v25
	v_or_b32_sdwa v42, v45, v42 dst_sel:WORD_1 dst_unused:UNUSED_PAD src0_sel:BYTE_0 src1_sel:DWORD
	v_cndmask_b32_e32 v46, 15, v24, vcc_lo
	v_cmp_ne_u32_e32 vcc_lo, 11, v25
	v_lshrrev_b32_e32 v45, 24, v23
	v_or_b32_sdwa v29, v29, v42 dst_sel:DWORD dst_unused:UNUSED_PAD src0_sel:WORD_0 src1_sel:DWORD
	v_or_b32_sdwa v43, v46, v44 dst_sel:DWORD dst_unused:UNUSED_PAD src0_sel:BYTE_0 src1_sel:DWORD
	v_lshrrev_b32_e32 v44, 8, v23
	v_cndmask_b32_e32 v41, 15, v41, vcc_lo
	v_cmp_ne_u32_e32 vcc_lo, 5, v25
	v_lshrrev_b32_e32 v46, 16, v24
	v_lshlrev_b16 v41, 8, v41
	v_cndmask_b32_e32 v44, 15, v44, vcc_lo
	v_cmp_ne_u32_e32 vcc_lo, 7, v25
	v_lshlrev_b16 v44, 8, v44
	v_cndmask_b32_e32 v45, 15, v45, vcc_lo
	v_cmp_ne_u32_e32 vcc_lo, 4, v25
	;; [unrolled: 3-line block ×3, first 2 shown]
	v_or_b32_sdwa v44, v48, v44 dst_sel:DWORD dst_unused:UNUSED_PAD src0_sel:BYTE_0 src1_sel:DWORD
	v_cndmask_b32_e32 v47, 15, v47, vcc_lo
	v_cmp_ne_u32_e32 vcc_lo, 10, v25
	v_or_b32_sdwa v45, v47, v45 dst_sel:WORD_1 dst_unused:UNUSED_PAD src0_sel:BYTE_0 src1_sel:DWORD
	v_cndmask_b32_e32 v46, 15, v46, vcc_lo
	v_bfe_u32 v47, v18, 15, 1
	v_cmp_eq_u32_e32 vcc_lo, 0, v40
	v_or_b32_sdwa v40, v44, v45 dst_sel:DWORD dst_unused:UNUSED_PAD src0_sel:WORD_0 src1_sel:DWORD
	v_add_nc_u32_e32 v25, v25, v47
	v_cndmask_b32_e32 v21, v26, v21, vcc_lo
	v_or_b32_sdwa v26, v46, v41 dst_sel:WORD_1 dst_unused:UNUSED_PAD src0_sel:BYTE_0 src1_sel:DWORD
	v_cndmask_b32_e32 v23, v40, v23, vcc_lo
	v_cndmask_b32_e32 v19, v28, v19, vcc_lo
	v_cmp_ne_u32_e64 s4, 1, v25
	v_lshrrev_b32_e32 v41, 8, v21
	v_lshrrev_b32_e32 v42, 24, v21
	v_or_b32_sdwa v26, v43, v26 dst_sel:DWORD dst_unused:UNUSED_PAD src0_sel:WORD_0 src1_sel:DWORD
	v_cndmask_b32_e32 v20, v29, v20, vcc_lo
	v_cndmask_b32_e32 v22, v27, v22, vcc_lo
	v_cndmask_b32_e64 v40, 16, v41, s4
	v_cmp_ne_u32_e64 s4, 3, v25
	v_cndmask_b32_e32 v24, v26, v24, vcc_lo
	v_lshrrev_b32_e32 v27, 8, v19
	v_cmp_ne_u32_e32 vcc_lo, 21, v25
	v_lshlrev_b16 v40, 8, v40
	v_cndmask_b32_e64 v41, 16, v42, s4
	v_cmp_ne_u32_e64 s4, 0, v25
	v_lshrrev_b32_e32 v42, 16, v21
	v_cndmask_b32_e32 v27, 16, v27, vcc_lo
	v_cmp_ne_u32_e32 vcc_lo, 23, v25
	v_lshlrev_b16 v41, 8, v41
	v_cndmask_b32_e64 v43, 16, v21, s4
	v_cmp_ne_u32_e64 s4, 2, v25
	v_and_b32_e32 v29, 0x10000, v18
	v_lshlrev_b16 v27, 8, v27
	v_lshrrev_b32_e32 v44, 24, v20
	v_or_b32_sdwa v26, v43, v40 dst_sel:DWORD dst_unused:UNUSED_PAD src0_sel:BYTE_0 src1_sel:DWORD
	v_cndmask_b32_e64 v42, 16, v42, s4
	v_lshrrev_b32_e32 v40, 24, v19
	v_cmp_ne_u32_e64 s4, 17, v25
	v_lshrrev_b32_e32 v43, 16, v22
	v_lshrrev_b32_e32 v47, 16, v24
	v_or_b32_sdwa v28, v42, v41 dst_sel:WORD_1 dst_unused:UNUSED_PAD src0_sel:BYTE_0 src1_sel:DWORD
	v_lshrrev_b32_e32 v42, 8, v20
	v_lshrrev_b32_e32 v48, 8, v23
	;; [unrolled: 1-line block ×4, first 2 shown]
	v_or_b32_sdwa v26, v26, v28 dst_sel:DWORD dst_unused:UNUSED_PAD src0_sel:WORD_0 src1_sel:DWORD
	v_cndmask_b32_e32 v28, 16, v40, vcc_lo
	v_cmp_ne_u32_e32 vcc_lo, 20, v25
	v_lshrrev_b32_e32 v40, 16, v19
	v_lshlrev_b16 v28, 8, v28
	v_cndmask_b32_e32 v41, 16, v19, vcc_lo
	v_cmp_ne_u32_e32 vcc_lo, 22, v25
	v_or_b32_sdwa v27, v41, v27 dst_sel:DWORD dst_unused:UNUSED_PAD src0_sel:BYTE_0 src1_sel:DWORD
	v_cndmask_b32_e32 v40, 16, v40, vcc_lo
	v_cmp_eq_u32_e32 vcc_lo, 0, v29
	v_lshrrev_b32_e32 v29, 8, v22
	v_lshrrev_b32_e32 v41, 24, v22
	v_or_b32_sdwa v28, v40, v28 dst_sel:WORD_1 dst_unused:UNUSED_PAD src0_sel:BYTE_0 src1_sel:DWORD
	v_cndmask_b32_e32 v21, v26, v21, vcc_lo
	v_cndmask_b32_e64 v29, 16, v29, s4
	v_cmp_ne_u32_e64 s4, 19, v25
	v_or_b32_sdwa v27, v27, v28 dst_sel:DWORD dst_unused:UNUSED_PAD src0_sel:WORD_0 src1_sel:DWORD
	v_lshrrev_b32_e32 v26, 8, v21
	v_lshlrev_b16 v29, 8, v29
	v_cndmask_b32_e64 v40, 16, v41, s4
	v_cmp_ne_u32_e64 s4, 16, v25
	v_cndmask_b32_e32 v19, v27, v19, vcc_lo
	v_lshlrev_b16 v40, 8, v40
	v_cndmask_b32_e64 v41, 16, v22, s4
	v_cmp_ne_u32_e64 s4, 13, v25
	v_or_b32_sdwa v29, v41, v29 dst_sel:DWORD dst_unused:UNUSED_PAD src0_sel:BYTE_0 src1_sel:DWORD
	v_cndmask_b32_e64 v42, 16, v42, s4
	v_cmp_ne_u32_e64 s4, 18, v25
	v_lshlrev_b16 v42, 8, v42
	v_cndmask_b32_e64 v43, 16, v43, s4
	v_cmp_ne_u32_e64 s4, 12, v25
	v_or_b32_sdwa v40, v43, v40 dst_sel:WORD_1 dst_unused:UNUSED_PAD src0_sel:BYTE_0 src1_sel:DWORD
	v_cndmask_b32_e64 v45, 16, v20, s4
	v_cmp_ne_u32_e64 s4, 15, v25
	v_or_b32_sdwa v28, v29, v40 dst_sel:DWORD dst_unused:UNUSED_PAD src0_sel:WORD_0 src1_sel:DWORD
	v_or_b32_sdwa v41, v45, v42 dst_sel:DWORD dst_unused:UNUSED_PAD src0_sel:BYTE_0 src1_sel:DWORD
	v_cndmask_b32_e64 v44, 16, v44, s4
	v_lshrrev_b32_e32 v42, 8, v24
	v_cmp_ne_u32_e64 s4, 9, v25
	v_lshrrev_b32_e32 v45, 16, v20
	v_cndmask_b32_e32 v22, v28, v22, vcc_lo
	v_lshlrev_b16 v43, 8, v44
	v_lshrrev_b32_e32 v44, 24, v24
	v_cndmask_b32_e64 v42, 16, v42, s4
	v_cmp_ne_u32_e64 s4, 11, v25
	v_lshrrev_b32_e32 v28, 24, v21
	v_lshlrev_b16 v42, 8, v42
	v_cndmask_b32_e64 v44, 16, v44, s4
	v_cmp_ne_u32_e64 s4, 8, v25
	v_lshlrev_b16 v44, 8, v44
	v_cndmask_b32_e64 v46, 16, v24, s4
	v_cmp_ne_u32_e64 s4, 10, v25
	v_or_b32_sdwa v42, v46, v42 dst_sel:DWORD dst_unused:UNUSED_PAD src0_sel:BYTE_0 src1_sel:DWORD
	v_cndmask_b32_e64 v47, 16, v47, s4
	v_cmp_ne_u32_e64 s4, 5, v25
	v_or_b32_sdwa v44, v47, v44 dst_sel:WORD_1 dst_unused:UNUSED_PAD src0_sel:BYTE_0 src1_sel:DWORD
	v_cndmask_b32_e64 v48, 16, v48, s4
	v_cmp_ne_u32_e64 s4, 7, v25
	v_or_b32_sdwa v40, v42, v44 dst_sel:DWORD dst_unused:UNUSED_PAD src0_sel:WORD_0 src1_sel:DWORD
	v_lshlrev_b16 v48, 8, v48
	v_cndmask_b32_e64 v49, 16, v49, s4
	v_cmp_ne_u32_e64 s4, 4, v25
	v_bfe_u32 v42, v18, 16, 1
	v_cndmask_b32_e32 v24, v40, v24, vcc_lo
	v_and_b32_e32 v40, 0x20000, v18
	v_lshlrev_b16 v49, 8, v49
	v_cndmask_b32_e64 v51, 16, v23, s4
	v_cmp_ne_u32_e64 s4, 6, v25
	v_lshrrev_b32_e32 v44, 8, v24
	v_or_b32_sdwa v46, v51, v48 dst_sel:DWORD dst_unused:UNUSED_PAD src0_sel:BYTE_0 src1_sel:DWORD
	v_cndmask_b32_e64 v50, 16, v50, s4
	v_cmp_ne_u32_e64 s4, 14, v25
	v_add_nc_u32_e32 v25, v25, v42
	v_or_b32_sdwa v48, v50, v49 dst_sel:WORD_1 dst_unused:UNUSED_PAD src0_sel:BYTE_0 src1_sel:DWORD
	v_cndmask_b32_e64 v45, 16, v45, s4
	v_or_b32_sdwa v29, v46, v48 dst_sel:DWORD dst_unused:UNUSED_PAD src0_sel:WORD_0 src1_sel:DWORD
	v_or_b32_sdwa v43, v45, v43 dst_sel:WORD_1 dst_unused:UNUSED_PAD src0_sel:BYTE_0 src1_sel:DWORD
	v_cndmask_b32_e32 v23, v29, v23, vcc_lo
	v_or_b32_sdwa v41, v41, v43 dst_sel:DWORD dst_unused:UNUSED_PAD src0_sel:WORD_0 src1_sel:DWORD
	v_lshrrev_b32_e32 v47, 16, v23
	v_cndmask_b32_e32 v20, v41, v20, vcc_lo
	v_cmp_ne_u32_e32 vcc_lo, 1, v25
	v_lshrrev_b32_e32 v41, 8, v19
	v_lshrrev_b32_e32 v45, 16, v20
	v_cndmask_b32_e32 v26, 17, v26, vcc_lo
	v_cmp_ne_u32_e32 vcc_lo, 3, v25
	v_lshlrev_b16 v26, 8, v26
	v_cndmask_b32_e32 v27, 17, v28, vcc_lo
	v_cmp_ne_u32_e32 vcc_lo, 0, v25
	v_lshrrev_b32_e32 v28, 16, v21
	v_lshlrev_b16 v27, 8, v27
	v_cndmask_b32_e32 v29, 17, v21, vcc_lo
	v_cmp_ne_u32_e32 vcc_lo, 2, v25
	v_or_b32_sdwa v26, v29, v26 dst_sel:DWORD dst_unused:UNUSED_PAD src0_sel:BYTE_0 src1_sel:DWORD
	v_cndmask_b32_e32 v28, 17, v28, vcc_lo
	v_cmp_ne_u32_e32 vcc_lo, 21, v25
	v_lshrrev_b32_e32 v29, 24, v19
	v_or_b32_sdwa v27, v28, v27 dst_sel:WORD_1 dst_unused:UNUSED_PAD src0_sel:BYTE_0 src1_sel:DWORD
	v_cndmask_b32_e32 v28, 17, v41, vcc_lo
	v_cmp_ne_u32_e32 vcc_lo, 23, v25
	v_lshrrev_b32_e32 v41, 16, v19
	v_or_b32_sdwa v26, v26, v27 dst_sel:DWORD dst_unused:UNUSED_PAD src0_sel:WORD_0 src1_sel:DWORD
	v_lshlrev_b16 v28, 8, v28
	v_cndmask_b32_e32 v29, 17, v29, vcc_lo
	v_cmp_ne_u32_e32 vcc_lo, 20, v25
	v_lshrrev_b32_e32 v27, 8, v22
	v_lshlrev_b16 v29, 8, v29
	v_cndmask_b32_e32 v42, 17, v19, vcc_lo
	v_cmp_ne_u32_e32 vcc_lo, 22, v25
	v_or_b32_sdwa v28, v42, v28 dst_sel:DWORD dst_unused:UNUSED_PAD src0_sel:BYTE_0 src1_sel:DWORD
	v_cndmask_b32_e32 v41, 17, v41, vcc_lo
	v_cmp_ne_u32_e32 vcc_lo, 17, v25
	v_lshrrev_b32_e32 v42, 24, v22
	v_or_b32_sdwa v29, v41, v29 dst_sel:WORD_1 dst_unused:UNUSED_PAD src0_sel:BYTE_0 src1_sel:DWORD
	v_cndmask_b32_e32 v27, 17, v27, vcc_lo
	v_cmp_ne_u32_e32 vcc_lo, 19, v25
	v_or_b32_sdwa v28, v28, v29 dst_sel:DWORD dst_unused:UNUSED_PAD src0_sel:WORD_0 src1_sel:DWORD
	v_lshlrev_b16 v27, 8, v27
	v_cndmask_b32_e32 v41, 17, v42, vcc_lo
	v_cmp_ne_u32_e32 vcc_lo, 16, v25
	v_lshrrev_b32_e32 v42, 16, v22
	v_lshrrev_b32_e32 v29, 8, v20
	v_lshlrev_b16 v41, 8, v41
	v_cndmask_b32_e32 v43, 17, v22, vcc_lo
	v_cmp_ne_u32_e32 vcc_lo, 18, v25
	v_or_b32_sdwa v27, v43, v27 dst_sel:DWORD dst_unused:UNUSED_PAD src0_sel:BYTE_0 src1_sel:DWORD
	v_cndmask_b32_e32 v42, 17, v42, vcc_lo
	v_cmp_ne_u32_e32 vcc_lo, 13, v25
	v_lshrrev_b32_e32 v43, 24, v20
	v_or_b32_sdwa v41, v42, v41 dst_sel:WORD_1 dst_unused:UNUSED_PAD src0_sel:BYTE_0 src1_sel:DWORD
	v_cndmask_b32_e32 v29, 17, v29, vcc_lo
	v_cmp_ne_u32_e32 vcc_lo, 15, v25
	v_or_b32_sdwa v27, v27, v41 dst_sel:DWORD dst_unused:UNUSED_PAD src0_sel:WORD_0 src1_sel:DWORD
	v_lshlrev_b16 v29, 8, v29
	v_cndmask_b32_e32 v42, 17, v43, vcc_lo
	v_cmp_ne_u32_e32 vcc_lo, 12, v25
	v_lshrrev_b32_e32 v41, 24, v24
	v_lshlrev_b16 v42, 8, v42
	v_cndmask_b32_e32 v43, 17, v20, vcc_lo
	v_cmp_ne_u32_e32 vcc_lo, 9, v25
	v_or_b32_sdwa v29, v43, v29 dst_sel:DWORD dst_unused:UNUSED_PAD src0_sel:BYTE_0 src1_sel:DWORD
	v_cndmask_b32_e32 v44, 17, v44, vcc_lo
	v_cmp_ne_u32_e32 vcc_lo, 14, v25
	v_lshlrev_b16 v44, 8, v44
	v_cndmask_b32_e32 v45, 17, v45, vcc_lo
	v_cmp_ne_u32_e32 vcc_lo, 8, v25
	v_or_b32_sdwa v42, v45, v42 dst_sel:WORD_1 dst_unused:UNUSED_PAD src0_sel:BYTE_0 src1_sel:DWORD
	v_cndmask_b32_e32 v46, 17, v24, vcc_lo
	v_cmp_ne_u32_e32 vcc_lo, 11, v25
	v_lshrrev_b32_e32 v45, 24, v23
	v_or_b32_sdwa v29, v29, v42 dst_sel:DWORD dst_unused:UNUSED_PAD src0_sel:WORD_0 src1_sel:DWORD
	v_or_b32_sdwa v43, v46, v44 dst_sel:DWORD dst_unused:UNUSED_PAD src0_sel:BYTE_0 src1_sel:DWORD
	v_lshrrev_b32_e32 v44, 8, v23
	v_cndmask_b32_e32 v41, 17, v41, vcc_lo
	v_cmp_ne_u32_e32 vcc_lo, 5, v25
	v_lshrrev_b32_e32 v46, 16, v24
	v_lshlrev_b16 v41, 8, v41
	v_cndmask_b32_e32 v44, 17, v44, vcc_lo
	v_cmp_ne_u32_e32 vcc_lo, 7, v25
	v_lshlrev_b16 v44, 8, v44
	v_cndmask_b32_e32 v45, 17, v45, vcc_lo
	v_cmp_ne_u32_e32 vcc_lo, 4, v25
	v_lshlrev_b16 v45, 8, v45
	v_cndmask_b32_e32 v48, 17, v23, vcc_lo
	v_cmp_ne_u32_e32 vcc_lo, 6, v25
	v_or_b32_sdwa v44, v48, v44 dst_sel:DWORD dst_unused:UNUSED_PAD src0_sel:BYTE_0 src1_sel:DWORD
	v_cndmask_b32_e32 v47, 17, v47, vcc_lo
	v_cmp_ne_u32_e32 vcc_lo, 10, v25
	v_or_b32_sdwa v45, v47, v45 dst_sel:WORD_1 dst_unused:UNUSED_PAD src0_sel:BYTE_0 src1_sel:DWORD
	v_cndmask_b32_e32 v46, 17, v46, vcc_lo
	v_bfe_u32 v47, v18, 17, 1
	v_cmp_eq_u32_e32 vcc_lo, 0, v40
	v_or_b32_sdwa v40, v44, v45 dst_sel:DWORD dst_unused:UNUSED_PAD src0_sel:WORD_0 src1_sel:DWORD
	v_add_nc_u32_e32 v25, v25, v47
	v_cndmask_b32_e32 v21, v26, v21, vcc_lo
	v_or_b32_sdwa v26, v46, v41 dst_sel:WORD_1 dst_unused:UNUSED_PAD src0_sel:BYTE_0 src1_sel:DWORD
	v_cndmask_b32_e32 v23, v40, v23, vcc_lo
	v_cndmask_b32_e32 v19, v28, v19, vcc_lo
	v_cmp_ne_u32_e64 s4, 1, v25
	v_lshrrev_b32_e32 v41, 8, v21
	v_lshrrev_b32_e32 v42, 24, v21
	v_or_b32_sdwa v26, v43, v26 dst_sel:DWORD dst_unused:UNUSED_PAD src0_sel:WORD_0 src1_sel:DWORD
	v_cndmask_b32_e32 v20, v29, v20, vcc_lo
	v_cndmask_b32_e32 v22, v27, v22, vcc_lo
	v_cndmask_b32_e64 v40, 18, v41, s4
	v_cmp_ne_u32_e64 s4, 3, v25
	v_cndmask_b32_e32 v24, v26, v24, vcc_lo
	v_lshrrev_b32_e32 v27, 8, v19
	v_cmp_ne_u32_e32 vcc_lo, 21, v25
	v_lshlrev_b16 v40, 8, v40
	v_cndmask_b32_e64 v41, 18, v42, s4
	v_cmp_ne_u32_e64 s4, 0, v25
	v_lshrrev_b32_e32 v42, 16, v21
	v_cndmask_b32_e32 v27, 18, v27, vcc_lo
	v_cmp_ne_u32_e32 vcc_lo, 23, v25
	v_lshlrev_b16 v41, 8, v41
	v_cndmask_b32_e64 v43, 18, v21, s4
	v_cmp_ne_u32_e64 s4, 2, v25
	v_and_b32_e32 v29, 0x40000, v18
	v_lshlrev_b16 v27, 8, v27
	v_lshrrev_b32_e32 v44, 24, v20
	v_or_b32_sdwa v26, v43, v40 dst_sel:DWORD dst_unused:UNUSED_PAD src0_sel:BYTE_0 src1_sel:DWORD
	v_cndmask_b32_e64 v42, 18, v42, s4
	v_lshrrev_b32_e32 v40, 24, v19
	v_cmp_ne_u32_e64 s4, 17, v25
	v_lshrrev_b32_e32 v43, 16, v22
	v_lshrrev_b32_e32 v47, 16, v24
	v_or_b32_sdwa v28, v42, v41 dst_sel:WORD_1 dst_unused:UNUSED_PAD src0_sel:BYTE_0 src1_sel:DWORD
	v_lshrrev_b32_e32 v42, 8, v20
	v_lshrrev_b32_e32 v48, 8, v23
	;; [unrolled: 1-line block ×4, first 2 shown]
	v_or_b32_sdwa v26, v26, v28 dst_sel:DWORD dst_unused:UNUSED_PAD src0_sel:WORD_0 src1_sel:DWORD
	v_cndmask_b32_e32 v28, 18, v40, vcc_lo
	v_cmp_ne_u32_e32 vcc_lo, 20, v25
	v_lshrrev_b32_e32 v40, 16, v19
	v_lshlrev_b16 v28, 8, v28
	v_cndmask_b32_e32 v41, 18, v19, vcc_lo
	v_cmp_ne_u32_e32 vcc_lo, 22, v25
	v_or_b32_sdwa v27, v41, v27 dst_sel:DWORD dst_unused:UNUSED_PAD src0_sel:BYTE_0 src1_sel:DWORD
	v_cndmask_b32_e32 v40, 18, v40, vcc_lo
	v_cmp_eq_u32_e32 vcc_lo, 0, v29
	v_lshrrev_b32_e32 v29, 8, v22
	v_lshrrev_b32_e32 v41, 24, v22
	v_or_b32_sdwa v28, v40, v28 dst_sel:WORD_1 dst_unused:UNUSED_PAD src0_sel:BYTE_0 src1_sel:DWORD
	v_cndmask_b32_e32 v21, v26, v21, vcc_lo
	v_cndmask_b32_e64 v29, 18, v29, s4
	v_cmp_ne_u32_e64 s4, 19, v25
	v_or_b32_sdwa v27, v27, v28 dst_sel:DWORD dst_unused:UNUSED_PAD src0_sel:WORD_0 src1_sel:DWORD
	v_lshrrev_b32_e32 v26, 8, v21
	v_lshlrev_b16 v29, 8, v29
	v_cndmask_b32_e64 v40, 18, v41, s4
	v_cmp_ne_u32_e64 s4, 16, v25
	v_cndmask_b32_e32 v19, v27, v19, vcc_lo
	v_lshlrev_b16 v40, 8, v40
	v_cndmask_b32_e64 v41, 18, v22, s4
	v_cmp_ne_u32_e64 s4, 13, v25
	v_or_b32_sdwa v29, v41, v29 dst_sel:DWORD dst_unused:UNUSED_PAD src0_sel:BYTE_0 src1_sel:DWORD
	v_cndmask_b32_e64 v42, 18, v42, s4
	v_cmp_ne_u32_e64 s4, 18, v25
	v_lshlrev_b16 v42, 8, v42
	v_cndmask_b32_e64 v43, 18, v43, s4
	v_cmp_ne_u32_e64 s4, 12, v25
	v_or_b32_sdwa v40, v43, v40 dst_sel:WORD_1 dst_unused:UNUSED_PAD src0_sel:BYTE_0 src1_sel:DWORD
	v_cndmask_b32_e64 v45, 18, v20, s4
	v_cmp_ne_u32_e64 s4, 15, v25
	v_or_b32_sdwa v28, v29, v40 dst_sel:DWORD dst_unused:UNUSED_PAD src0_sel:WORD_0 src1_sel:DWORD
	v_or_b32_sdwa v41, v45, v42 dst_sel:DWORD dst_unused:UNUSED_PAD src0_sel:BYTE_0 src1_sel:DWORD
	v_cndmask_b32_e64 v44, 18, v44, s4
	v_lshrrev_b32_e32 v42, 8, v24
	v_cmp_ne_u32_e64 s4, 9, v25
	v_lshrrev_b32_e32 v45, 16, v20
	v_cndmask_b32_e32 v22, v28, v22, vcc_lo
	v_lshlrev_b16 v43, 8, v44
	v_lshrrev_b32_e32 v44, 24, v24
	v_cndmask_b32_e64 v42, 18, v42, s4
	v_cmp_ne_u32_e64 s4, 11, v25
	v_lshrrev_b32_e32 v28, 24, v21
	v_lshlrev_b16 v42, 8, v42
	v_cndmask_b32_e64 v44, 18, v44, s4
	v_cmp_ne_u32_e64 s4, 8, v25
	v_lshlrev_b16 v44, 8, v44
	v_cndmask_b32_e64 v46, 18, v24, s4
	v_cmp_ne_u32_e64 s4, 10, v25
	v_or_b32_sdwa v42, v46, v42 dst_sel:DWORD dst_unused:UNUSED_PAD src0_sel:BYTE_0 src1_sel:DWORD
	v_cndmask_b32_e64 v47, 18, v47, s4
	v_cmp_ne_u32_e64 s4, 5, v25
	v_or_b32_sdwa v44, v47, v44 dst_sel:WORD_1 dst_unused:UNUSED_PAD src0_sel:BYTE_0 src1_sel:DWORD
	v_cndmask_b32_e64 v48, 18, v48, s4
	v_cmp_ne_u32_e64 s4, 7, v25
	v_or_b32_sdwa v40, v42, v44 dst_sel:DWORD dst_unused:UNUSED_PAD src0_sel:WORD_0 src1_sel:DWORD
	v_lshlrev_b16 v48, 8, v48
	v_cndmask_b32_e64 v49, 18, v49, s4
	v_cmp_ne_u32_e64 s4, 4, v25
	v_bfe_u32 v42, v18, 18, 1
	v_cndmask_b32_e32 v24, v40, v24, vcc_lo
	v_and_b32_e32 v40, 0x80000, v18
	v_lshlrev_b16 v49, 8, v49
	v_cndmask_b32_e64 v51, 18, v23, s4
	v_cmp_ne_u32_e64 s4, 6, v25
	v_lshrrev_b32_e32 v44, 8, v24
	v_or_b32_sdwa v46, v51, v48 dst_sel:DWORD dst_unused:UNUSED_PAD src0_sel:BYTE_0 src1_sel:DWORD
	v_cndmask_b32_e64 v50, 18, v50, s4
	v_cmp_ne_u32_e64 s4, 14, v25
	v_add_nc_u32_e32 v25, v25, v42
	v_or_b32_sdwa v48, v50, v49 dst_sel:WORD_1 dst_unused:UNUSED_PAD src0_sel:BYTE_0 src1_sel:DWORD
	v_cndmask_b32_e64 v45, 18, v45, s4
	v_or_b32_sdwa v29, v46, v48 dst_sel:DWORD dst_unused:UNUSED_PAD src0_sel:WORD_0 src1_sel:DWORD
	v_or_b32_sdwa v43, v45, v43 dst_sel:WORD_1 dst_unused:UNUSED_PAD src0_sel:BYTE_0 src1_sel:DWORD
	v_cndmask_b32_e32 v23, v29, v23, vcc_lo
	v_or_b32_sdwa v41, v41, v43 dst_sel:DWORD dst_unused:UNUSED_PAD src0_sel:WORD_0 src1_sel:DWORD
	v_lshrrev_b32_e32 v47, 16, v23
	v_cndmask_b32_e32 v20, v41, v20, vcc_lo
	v_cmp_ne_u32_e32 vcc_lo, 1, v25
	v_lshrrev_b32_e32 v41, 8, v19
	v_lshrrev_b32_e32 v45, 16, v20
	v_cndmask_b32_e32 v26, 19, v26, vcc_lo
	v_cmp_ne_u32_e32 vcc_lo, 3, v25
	v_lshlrev_b16 v26, 8, v26
	v_cndmask_b32_e32 v27, 19, v28, vcc_lo
	v_cmp_ne_u32_e32 vcc_lo, 0, v25
	v_lshrrev_b32_e32 v28, 16, v21
	v_lshlrev_b16 v27, 8, v27
	v_cndmask_b32_e32 v29, 19, v21, vcc_lo
	v_cmp_ne_u32_e32 vcc_lo, 2, v25
	v_or_b32_sdwa v26, v29, v26 dst_sel:DWORD dst_unused:UNUSED_PAD src0_sel:BYTE_0 src1_sel:DWORD
	v_cndmask_b32_e32 v28, 19, v28, vcc_lo
	v_cmp_ne_u32_e32 vcc_lo, 21, v25
	v_lshrrev_b32_e32 v29, 24, v19
	v_or_b32_sdwa v27, v28, v27 dst_sel:WORD_1 dst_unused:UNUSED_PAD src0_sel:BYTE_0 src1_sel:DWORD
	v_cndmask_b32_e32 v28, 19, v41, vcc_lo
	v_cmp_ne_u32_e32 vcc_lo, 23, v25
	v_lshrrev_b32_e32 v41, 16, v19
	v_or_b32_sdwa v26, v26, v27 dst_sel:DWORD dst_unused:UNUSED_PAD src0_sel:WORD_0 src1_sel:DWORD
	v_lshlrev_b16 v28, 8, v28
	v_cndmask_b32_e32 v29, 19, v29, vcc_lo
	v_cmp_ne_u32_e32 vcc_lo, 20, v25
	v_lshrrev_b32_e32 v27, 8, v22
	v_lshlrev_b16 v29, 8, v29
	v_cndmask_b32_e32 v42, 19, v19, vcc_lo
	v_cmp_ne_u32_e32 vcc_lo, 22, v25
	v_or_b32_sdwa v28, v42, v28 dst_sel:DWORD dst_unused:UNUSED_PAD src0_sel:BYTE_0 src1_sel:DWORD
	v_cndmask_b32_e32 v41, 19, v41, vcc_lo
	v_cmp_ne_u32_e32 vcc_lo, 17, v25
	v_lshrrev_b32_e32 v42, 24, v22
	v_or_b32_sdwa v29, v41, v29 dst_sel:WORD_1 dst_unused:UNUSED_PAD src0_sel:BYTE_0 src1_sel:DWORD
	v_cndmask_b32_e32 v27, 19, v27, vcc_lo
	v_cmp_ne_u32_e32 vcc_lo, 19, v25
	v_or_b32_sdwa v28, v28, v29 dst_sel:DWORD dst_unused:UNUSED_PAD src0_sel:WORD_0 src1_sel:DWORD
	v_lshlrev_b16 v27, 8, v27
	v_cndmask_b32_e32 v41, 19, v42, vcc_lo
	v_cmp_ne_u32_e32 vcc_lo, 16, v25
	v_lshrrev_b32_e32 v42, 16, v22
	v_lshrrev_b32_e32 v29, 8, v20
	v_lshlrev_b16 v41, 8, v41
	v_cndmask_b32_e32 v43, 19, v22, vcc_lo
	v_cmp_ne_u32_e32 vcc_lo, 18, v25
	v_or_b32_sdwa v27, v43, v27 dst_sel:DWORD dst_unused:UNUSED_PAD src0_sel:BYTE_0 src1_sel:DWORD
	v_cndmask_b32_e32 v42, 19, v42, vcc_lo
	v_cmp_ne_u32_e32 vcc_lo, 13, v25
	v_lshrrev_b32_e32 v43, 24, v20
	v_or_b32_sdwa v41, v42, v41 dst_sel:WORD_1 dst_unused:UNUSED_PAD src0_sel:BYTE_0 src1_sel:DWORD
	v_cndmask_b32_e32 v29, 19, v29, vcc_lo
	v_cmp_ne_u32_e32 vcc_lo, 15, v25
	v_or_b32_sdwa v27, v27, v41 dst_sel:DWORD dst_unused:UNUSED_PAD src0_sel:WORD_0 src1_sel:DWORD
	v_lshlrev_b16 v29, 8, v29
	v_cndmask_b32_e32 v42, 19, v43, vcc_lo
	v_cmp_ne_u32_e32 vcc_lo, 12, v25
	v_lshrrev_b32_e32 v41, 24, v24
	v_lshlrev_b16 v42, 8, v42
	v_cndmask_b32_e32 v43, 19, v20, vcc_lo
	v_cmp_ne_u32_e32 vcc_lo, 9, v25
	v_or_b32_sdwa v29, v43, v29 dst_sel:DWORD dst_unused:UNUSED_PAD src0_sel:BYTE_0 src1_sel:DWORD
	v_cndmask_b32_e32 v44, 19, v44, vcc_lo
	v_cmp_ne_u32_e32 vcc_lo, 14, v25
	v_lshlrev_b16 v44, 8, v44
	v_cndmask_b32_e32 v45, 19, v45, vcc_lo
	v_cmp_ne_u32_e32 vcc_lo, 8, v25
	v_or_b32_sdwa v42, v45, v42 dst_sel:WORD_1 dst_unused:UNUSED_PAD src0_sel:BYTE_0 src1_sel:DWORD
	v_cndmask_b32_e32 v46, 19, v24, vcc_lo
	v_cmp_ne_u32_e32 vcc_lo, 11, v25
	v_lshrrev_b32_e32 v45, 24, v23
	v_or_b32_sdwa v29, v29, v42 dst_sel:DWORD dst_unused:UNUSED_PAD src0_sel:WORD_0 src1_sel:DWORD
	v_or_b32_sdwa v43, v46, v44 dst_sel:DWORD dst_unused:UNUSED_PAD src0_sel:BYTE_0 src1_sel:DWORD
	v_lshrrev_b32_e32 v44, 8, v23
	v_cndmask_b32_e32 v41, 19, v41, vcc_lo
	v_cmp_ne_u32_e32 vcc_lo, 5, v25
	v_lshrrev_b32_e32 v46, 16, v24
	v_lshlrev_b16 v41, 8, v41
	v_cndmask_b32_e32 v44, 19, v44, vcc_lo
	v_cmp_ne_u32_e32 vcc_lo, 7, v25
	v_lshlrev_b16 v44, 8, v44
	v_cndmask_b32_e32 v45, 19, v45, vcc_lo
	v_cmp_ne_u32_e32 vcc_lo, 4, v25
	;; [unrolled: 3-line block ×3, first 2 shown]
	v_or_b32_sdwa v44, v48, v44 dst_sel:DWORD dst_unused:UNUSED_PAD src0_sel:BYTE_0 src1_sel:DWORD
	v_cndmask_b32_e32 v47, 19, v47, vcc_lo
	v_cmp_ne_u32_e32 vcc_lo, 10, v25
	v_or_b32_sdwa v45, v47, v45 dst_sel:WORD_1 dst_unused:UNUSED_PAD src0_sel:BYTE_0 src1_sel:DWORD
	v_cndmask_b32_e32 v46, 19, v46, vcc_lo
	v_bfe_u32 v47, v18, 19, 1
	v_cmp_eq_u32_e32 vcc_lo, 0, v40
	v_or_b32_sdwa v40, v44, v45 dst_sel:DWORD dst_unused:UNUSED_PAD src0_sel:WORD_0 src1_sel:DWORD
	v_add_nc_u32_e32 v25, v25, v47
	v_cndmask_b32_e32 v21, v26, v21, vcc_lo
	v_or_b32_sdwa v26, v46, v41 dst_sel:WORD_1 dst_unused:UNUSED_PAD src0_sel:BYTE_0 src1_sel:DWORD
	v_cndmask_b32_e32 v23, v40, v23, vcc_lo
	v_cndmask_b32_e32 v19, v28, v19, vcc_lo
	v_cmp_ne_u32_e64 s4, 1, v25
	v_lshrrev_b32_e32 v41, 8, v21
	v_lshrrev_b32_e32 v42, 24, v21
	v_or_b32_sdwa v26, v43, v26 dst_sel:DWORD dst_unused:UNUSED_PAD src0_sel:WORD_0 src1_sel:DWORD
	v_cndmask_b32_e32 v20, v29, v20, vcc_lo
	v_cndmask_b32_e32 v22, v27, v22, vcc_lo
	v_cndmask_b32_e64 v40, 20, v41, s4
	v_cmp_ne_u32_e64 s4, 3, v25
	v_cndmask_b32_e32 v24, v26, v24, vcc_lo
	v_lshrrev_b32_e32 v27, 8, v19
	v_cmp_ne_u32_e32 vcc_lo, 21, v25
	v_lshlrev_b16 v40, 8, v40
	v_cndmask_b32_e64 v41, 20, v42, s4
	v_cmp_ne_u32_e64 s4, 0, v25
	v_lshrrev_b32_e32 v42, 16, v21
	v_cndmask_b32_e32 v27, 20, v27, vcc_lo
	v_cmp_ne_u32_e32 vcc_lo, 23, v25
	v_lshlrev_b16 v41, 8, v41
	v_cndmask_b32_e64 v43, 20, v21, s4
	v_cmp_ne_u32_e64 s4, 2, v25
	v_and_b32_e32 v29, 0x100000, v18
	v_lshlrev_b16 v27, 8, v27
	v_lshrrev_b32_e32 v44, 24, v24
	v_or_b32_sdwa v26, v43, v40 dst_sel:DWORD dst_unused:UNUSED_PAD src0_sel:BYTE_0 src1_sel:DWORD
	v_cndmask_b32_e64 v42, 20, v42, s4
	v_lshrrev_b32_e32 v40, 24, v19
	v_cmp_ne_u32_e64 s4, 17, v25
	v_lshrrev_b32_e32 v43, 8, v24
	v_lshrrev_b32_e32 v47, 16, v24
	v_or_b32_sdwa v28, v42, v41 dst_sel:WORD_1 dst_unused:UNUSED_PAD src0_sel:BYTE_0 src1_sel:DWORD
	v_lshrrev_b32_e32 v48, 8, v23
	v_lshrrev_b32_e32 v49, 24, v23
	;; [unrolled: 1-line block ×4, first 2 shown]
	v_or_b32_sdwa v26, v26, v28 dst_sel:DWORD dst_unused:UNUSED_PAD src0_sel:WORD_0 src1_sel:DWORD
	v_cndmask_b32_e32 v28, 20, v40, vcc_lo
	v_cmp_ne_u32_e32 vcc_lo, 20, v25
	v_lshrrev_b32_e32 v40, 16, v19
	v_lshlrev_b16 v28, 8, v28
	v_cndmask_b32_e32 v41, 20, v19, vcc_lo
	v_cmp_ne_u32_e32 vcc_lo, 22, v25
	v_or_b32_sdwa v27, v41, v27 dst_sel:DWORD dst_unused:UNUSED_PAD src0_sel:BYTE_0 src1_sel:DWORD
	v_cndmask_b32_e32 v40, 20, v40, vcc_lo
	v_cmp_eq_u32_e32 vcc_lo, 0, v29
	v_lshrrev_b32_e32 v29, 8, v22
	v_lshrrev_b32_e32 v41, 24, v22
	v_or_b32_sdwa v28, v40, v28 dst_sel:WORD_1 dst_unused:UNUSED_PAD src0_sel:BYTE_0 src1_sel:DWORD
	v_cndmask_b32_e32 v21, v26, v21, vcc_lo
	v_cndmask_b32_e64 v29, 20, v29, s4
	v_cmp_ne_u32_e64 s4, 19, v25
	v_or_b32_sdwa v27, v27, v28 dst_sel:DWORD dst_unused:UNUSED_PAD src0_sel:WORD_0 src1_sel:DWORD
	v_lshrrev_b32_e32 v28, 8, v20
	v_lshlrev_b16 v29, 8, v29
	v_cndmask_b32_e64 v40, 20, v41, s4
	v_cmp_ne_u32_e64 s4, 16, v25
	v_lshrrev_b32_e32 v41, 16, v22
	v_cndmask_b32_e32 v19, v27, v19, vcc_lo
	v_lshlrev_b16 v40, 8, v40
	v_cndmask_b32_e64 v42, 20, v22, s4
	v_cmp_ne_u32_e64 s4, 18, v25
	v_or_b32_sdwa v29, v42, v29 dst_sel:DWORD dst_unused:UNUSED_PAD src0_sel:BYTE_0 src1_sel:DWORD
	v_cndmask_b32_e64 v41, 20, v41, s4
	v_cmp_ne_u32_e64 s4, 13, v25
	v_lshrrev_b32_e32 v42, 24, v20
	v_or_b32_sdwa v40, v41, v40 dst_sel:WORD_1 dst_unused:UNUSED_PAD src0_sel:BYTE_0 src1_sel:DWORD
	v_cndmask_b32_e64 v28, 20, v28, s4
	v_cmp_ne_u32_e64 s4, 15, v25
	v_or_b32_sdwa v29, v29, v40 dst_sel:DWORD dst_unused:UNUSED_PAD src0_sel:WORD_0 src1_sel:DWORD
	v_lshlrev_b16 v28, 8, v28
	v_cndmask_b32_e64 v41, 20, v42, s4
	v_cmp_ne_u32_e64 s4, 12, v25
	v_cndmask_b32_e32 v22, v29, v22, vcc_lo
	v_lshrrev_b32_e32 v29, 24, v19
	v_lshlrev_b16 v41, 8, v41
	v_cndmask_b32_e64 v42, 20, v20, s4
	v_cmp_ne_u32_e64 s4, 9, v25
	v_or_b32_sdwa v28, v42, v28 dst_sel:DWORD dst_unused:UNUSED_PAD src0_sel:BYTE_0 src1_sel:DWORD
	v_cndmask_b32_e64 v43, 20, v43, s4
	v_cmp_ne_u32_e64 s4, 11, v25
	v_lshlrev_b16 v43, 8, v43
	v_cndmask_b32_e64 v44, 20, v44, s4
	v_cmp_ne_u32_e64 s4, 8, v25
	v_lshlrev_b16 v44, 8, v44
	v_cndmask_b32_e64 v46, 20, v24, s4
	v_cmp_ne_u32_e64 s4, 10, v25
	v_or_b32_sdwa v43, v46, v43 dst_sel:DWORD dst_unused:UNUSED_PAD src0_sel:BYTE_0 src1_sel:DWORD
	v_cndmask_b32_e64 v47, 20, v47, s4
	v_cmp_ne_u32_e64 s4, 5, v25
	v_or_b32_sdwa v44, v47, v44 dst_sel:WORD_1 dst_unused:UNUSED_PAD src0_sel:BYTE_0 src1_sel:DWORD
	v_cndmask_b32_e64 v48, 20, v48, s4
	v_cmp_ne_u32_e64 s4, 7, v25
	v_or_b32_sdwa v42, v43, v44 dst_sel:DWORD dst_unused:UNUSED_PAD src0_sel:WORD_0 src1_sel:DWORD
	v_bfe_u32 v43, v18, 20, 1
	v_cndmask_b32_e64 v49, 20, v49, s4
	v_cmp_ne_u32_e64 s4, 4, v25
	v_lshlrev_b16 v48, 8, v48
	v_cndmask_b32_e32 v24, v42, v24, vcc_lo
	v_lshrrev_b32_e32 v42, 24, v22
	v_lshlrev_b16 v49, 8, v49
	v_cndmask_b32_e64 v51, 20, v23, s4
	v_cmp_ne_u32_e64 s4, 6, v25
	v_lshrrev_b32_e32 v44, 16, v22
	v_or_b32_sdwa v46, v51, v48 dst_sel:DWORD dst_unused:UNUSED_PAD src0_sel:BYTE_0 src1_sel:DWORD
	v_cndmask_b32_e64 v50, 20, v50, s4
	v_cmp_ne_u32_e64 s4, 14, v25
	v_add_nc_u32_e32 v25, v25, v43
	v_or_b32_sdwa v48, v50, v49 dst_sel:WORD_1 dst_unused:UNUSED_PAD src0_sel:BYTE_0 src1_sel:DWORD
	v_cndmask_b32_e64 v45, 20, v45, s4
	v_cmp_ne_u32_e64 s4, 1, v25
	v_or_b32_sdwa v40, v45, v41 dst_sel:WORD_1 dst_unused:UNUSED_PAD src0_sel:BYTE_0 src1_sel:DWORD
	v_or_b32_sdwa v41, v46, v48 dst_sel:DWORD dst_unused:UNUSED_PAD src0_sel:WORD_0 src1_sel:DWORD
	v_lshrrev_b32_e32 v48, 16, v24
	v_or_b32_sdwa v26, v28, v40 dst_sel:DWORD dst_unused:UNUSED_PAD src0_sel:WORD_0 src1_sel:DWORD
	v_lshrrev_b32_e32 v28, 8, v21
	v_cndmask_b32_e32 v23, v41, v23, vcc_lo
	v_lshrrev_b32_e32 v40, 16, v21
	v_lshrrev_b32_e32 v41, 8, v19
	v_cndmask_b32_e32 v20, v26, v20, vcc_lo
	v_lshrrev_b32_e32 v26, 24, v21
	v_cndmask_b32_e64 v27, 21, v28, s4
	v_cmp_ne_u32_e64 s4, 3, v25
	v_cmp_ne_u32_e32 vcc_lo, 21, v25
	v_lshrrev_b32_e32 v45, 8, v20
	v_lshrrev_b32_e32 v46, 8, v23
	v_lshlrev_b16 v27, 8, v27
	v_cndmask_b32_e64 v26, 21, v26, s4
	v_cmp_ne_u32_e64 s4, 0, v25
	v_lshrrev_b32_e32 v47, 24, v23
	v_lshrrev_b32_e32 v49, 16, v23
	v_lshlrev_b16 v26, 8, v26
	v_cndmask_b32_e64 v28, 21, v21, s4
	v_cmp_ne_u32_e64 s4, 2, v25
	v_or_b32_sdwa v27, v28, v27 dst_sel:DWORD dst_unused:UNUSED_PAD src0_sel:BYTE_0 src1_sel:DWORD
	v_cndmask_b32_e64 v40, 21, v40, s4
	v_cndmask_b32_e32 v28, 21, v41, vcc_lo
	v_cmp_ne_u32_e32 vcc_lo, 20, v25
	v_and_b32_e32 v41, 0x200000, v18
	v_or_b32_sdwa v26, v40, v26 dst_sel:WORD_1 dst_unused:UNUSED_PAD src0_sel:BYTE_0 src1_sel:DWORD
	v_lshlrev_b16 v28, 8, v28
	v_cndmask_b32_e32 v40, 21, v19, vcc_lo
	v_cmp_ne_u32_e32 vcc_lo, 23, v25
	v_or_b32_sdwa v26, v27, v26 dst_sel:DWORD dst_unused:UNUSED_PAD src0_sel:WORD_0 src1_sel:DWORD
	v_or_b32_sdwa v27, v40, v28 dst_sel:DWORD dst_unused:UNUSED_PAD src0_sel:BYTE_0 src1_sel:DWORD
	v_cndmask_b32_e32 v29, 21, v29, vcc_lo
	v_lshrrev_b32_e32 v28, 16, v19
	v_cmp_ne_u32_e32 vcc_lo, 22, v25
	v_lshrrev_b32_e32 v40, 8, v22
	v_lshlrev_b16 v29, 8, v29
	v_cndmask_b32_e32 v28, 21, v28, vcc_lo
	v_cmp_ne_u32_e32 vcc_lo, 17, v25
	v_or_b32_sdwa v28, v28, v29 dst_sel:WORD_1 dst_unused:UNUSED_PAD src0_sel:BYTE_0 src1_sel:DWORD
	v_cndmask_b32_e32 v40, 21, v40, vcc_lo
	v_cmp_ne_u32_e32 vcc_lo, 19, v25
	v_or_b32_sdwa v27, v27, v28 dst_sel:DWORD dst_unused:UNUSED_PAD src0_sel:WORD_0 src1_sel:DWORD
	v_lshlrev_b16 v40, 8, v40
	v_cndmask_b32_e32 v42, 21, v42, vcc_lo
	v_cmp_ne_u32_e32 vcc_lo, 16, v25
	v_lshlrev_b16 v42, 8, v42
	v_cndmask_b32_e32 v43, 21, v22, vcc_lo
	v_cmp_ne_u32_e32 vcc_lo, 18, v25
	v_or_b32_sdwa v29, v43, v40 dst_sel:DWORD dst_unused:UNUSED_PAD src0_sel:BYTE_0 src1_sel:DWORD
	v_cndmask_b32_e32 v44, 21, v44, vcc_lo
	v_cmp_ne_u32_e32 vcc_lo, 13, v25
	v_lshrrev_b32_e32 v43, 24, v20
	v_or_b32_sdwa v42, v44, v42 dst_sel:WORD_1 dst_unused:UNUSED_PAD src0_sel:BYTE_0 src1_sel:DWORD
	v_cndmask_b32_e32 v40, 21, v45, vcc_lo
	v_cmp_ne_u32_e32 vcc_lo, 12, v25
	v_or_b32_sdwa v28, v29, v42 dst_sel:DWORD dst_unused:UNUSED_PAD src0_sel:WORD_0 src1_sel:DWORD
	v_lshlrev_b16 v40, 8, v40
	v_cndmask_b32_e32 v44, 21, v20, vcc_lo
	v_cmp_ne_u32_e32 vcc_lo, 15, v25
	v_or_b32_sdwa v29, v44, v40 dst_sel:DWORD dst_unused:UNUSED_PAD src0_sel:BYTE_0 src1_sel:DWORD
	v_cndmask_b32_e32 v43, 21, v43, vcc_lo
	v_lshrrev_b32_e32 v40, 16, v20
	v_cmp_ne_u32_e32 vcc_lo, 14, v25
	v_lshrrev_b32_e32 v44, 24, v24
	v_lshlrev_b16 v42, 8, v43
	v_lshrrev_b32_e32 v43, 8, v24
	v_cndmask_b32_e32 v40, 21, v40, vcc_lo
	v_cmp_ne_u32_e32 vcc_lo, 9, v25
	v_or_b32_sdwa v40, v40, v42 dst_sel:WORD_1 dst_unused:UNUSED_PAD src0_sel:BYTE_0 src1_sel:DWORD
	v_cndmask_b32_e32 v43, 21, v43, vcc_lo
	v_cmp_ne_u32_e32 vcc_lo, 11, v25
	v_or_b32_sdwa v29, v29, v40 dst_sel:DWORD dst_unused:UNUSED_PAD src0_sel:WORD_0 src1_sel:DWORD
	v_lshlrev_b16 v43, 8, v43
	v_cndmask_b32_e32 v44, 21, v44, vcc_lo
	v_cmp_ne_u32_e32 vcc_lo, 8, v25
	v_lshlrev_b16 v44, 8, v44
	v_cndmask_b32_e32 v45, 21, v24, vcc_lo
	v_cmp_ne_u32_e32 vcc_lo, 5, v25
	v_or_b32_sdwa v42, v45, v43 dst_sel:DWORD dst_unused:UNUSED_PAD src0_sel:BYTE_0 src1_sel:DWORD
	v_cndmask_b32_e32 v46, 21, v46, vcc_lo
	v_cmp_ne_u32_e32 vcc_lo, 7, v25
	v_lshlrev_b16 v46, 8, v46
	v_cndmask_b32_e32 v47, 21, v47, vcc_lo
	v_cmp_ne_u32_e32 vcc_lo, 4, v25
	v_lshlrev_b16 v47, 8, v47
	v_cndmask_b32_e32 v50, 21, v23, vcc_lo
	v_cmp_ne_u32_e32 vcc_lo, 6, v25
	v_or_b32_sdwa v43, v50, v46 dst_sel:DWORD dst_unused:UNUSED_PAD src0_sel:BYTE_0 src1_sel:DWORD
	v_cndmask_b32_e32 v49, 21, v49, vcc_lo
	v_cmp_ne_u32_e32 vcc_lo, 10, v25
	v_bfe_u32 v46, v18, 21, 1
	v_or_b32_sdwa v45, v49, v47 dst_sel:WORD_1 dst_unused:UNUSED_PAD src0_sel:BYTE_0 src1_sel:DWORD
	v_cndmask_b32_e32 v48, 21, v48, vcc_lo
	v_cmp_eq_u32_e32 vcc_lo, 0, v41
	v_add_nc_u32_e32 v25, v25, v46
	v_or_b32_sdwa v44, v48, v44 dst_sel:WORD_1 dst_unused:UNUSED_PAD src0_sel:BYTE_0 src1_sel:DWORD
	v_cndmask_b32_e32 v21, v26, v21, vcc_lo
	v_or_b32_sdwa v26, v43, v45 dst_sel:DWORD dst_unused:UNUSED_PAD src0_sel:WORD_0 src1_sel:DWORD
	v_cmp_ne_u32_e64 s4, 1, v25
	v_cndmask_b32_e32 v20, v29, v20, vcc_lo
	v_or_b32_sdwa v41, v42, v44 dst_sel:DWORD dst_unused:UNUSED_PAD src0_sel:WORD_0 src1_sel:DWORD
	v_lshrrev_b32_e32 v40, 8, v21
	v_cndmask_b32_e32 v23, v26, v23, vcc_lo
	v_cndmask_b32_e32 v22, v28, v22, vcc_lo
	;; [unrolled: 1-line block ×4, first 2 shown]
	v_cndmask_b32_e64 v26, 22, v40, s4
	v_cmp_ne_u32_e64 s4, 0, v25
	v_cmp_ne_u32_e32 vcc_lo, 2, v25
	v_lshrrev_b32_e32 v40, 8, v19
	v_lshrrev_b32_e32 v41, 24, v19
	v_lshlrev_b16 v26, 8, v26
	v_cndmask_b32_e64 v29, 22, v21, s4
	v_lshrrev_b32_e32 v28, 24, v21
	v_cmp_ne_u32_e64 s4, 3, v25
	v_lshrrev_b32_e32 v43, 16, v19
	v_lshrrev_b32_e32 v44, 8, v22
	v_or_b32_sdwa v26, v29, v26 dst_sel:DWORD dst_unused:UNUSED_PAD src0_sel:BYTE_0 src1_sel:DWORD
	v_lshrrev_b32_e32 v29, 16, v21
	v_cndmask_b32_e64 v28, 22, v28, s4
	v_lshrrev_b32_e32 v45, 16, v20
	v_lshrrev_b32_e32 v46, 8, v24
	v_and_b32_e32 v27, 0x400000, v18
	v_cndmask_b32_e32 v29, 22, v29, vcc_lo
	v_cmp_ne_u32_e32 vcc_lo, 21, v25
	v_lshlrev_b16 v28, 8, v28
	v_bfe_u32 v48, v18, 22, 1
	v_cndmask_b32_e32 v40, 22, v40, vcc_lo
	v_cmp_ne_u32_e32 vcc_lo, 23, v25
	v_or_b32_sdwa v28, v29, v28 dst_sel:WORD_1 dst_unused:UNUSED_PAD src0_sel:BYTE_0 src1_sel:DWORD
	v_lshlrev_b16 v40, 8, v40
	v_cndmask_b32_e32 v41, 22, v41, vcc_lo
	v_cmp_ne_u32_e32 vcc_lo, 20, v25
	v_or_b32_sdwa v26, v26, v28 dst_sel:DWORD dst_unused:UNUSED_PAD src0_sel:WORD_0 src1_sel:DWORD
	v_lshlrev_b16 v41, 8, v41
	v_cndmask_b32_e32 v42, 22, v19, vcc_lo
	v_cmp_ne_u32_e32 vcc_lo, 22, v25
	v_or_b32_sdwa v29, v42, v40 dst_sel:DWORD dst_unused:UNUSED_PAD src0_sel:BYTE_0 src1_sel:DWORD
	v_cndmask_b32_e32 v43, 22, v43, vcc_lo
	v_cmp_ne_u32_e32 vcc_lo, 17, v25
	v_lshrrev_b32_e32 v42, 24, v22
	v_or_b32_sdwa v41, v43, v41 dst_sel:WORD_1 dst_unused:UNUSED_PAD src0_sel:BYTE_0 src1_sel:DWORD
	v_cndmask_b32_e32 v40, 22, v44, vcc_lo
	v_cmp_ne_u32_e32 vcc_lo, 16, v25
	v_or_b32_sdwa v28, v29, v41 dst_sel:DWORD dst_unused:UNUSED_PAD src0_sel:WORD_0 src1_sel:DWORD
	v_lshlrev_b16 v40, 8, v40
	v_cndmask_b32_e32 v43, 22, v22, vcc_lo
	v_cmp_ne_u32_e32 vcc_lo, 19, v25
	v_or_b32_sdwa v29, v43, v40 dst_sel:DWORD dst_unused:UNUSED_PAD src0_sel:BYTE_0 src1_sel:DWORD
	v_cndmask_b32_e32 v42, 22, v42, vcc_lo
	v_lshrrev_b32_e32 v40, 16, v22
	v_cmp_ne_u32_e32 vcc_lo, 18, v25
	v_lshrrev_b32_e32 v43, 24, v20
	v_lshlrev_b16 v41, 8, v42
	v_lshrrev_b32_e32 v42, 8, v20
	v_cndmask_b32_e32 v40, 22, v40, vcc_lo
	v_cmp_ne_u32_e32 vcc_lo, 13, v25
	v_or_b32_sdwa v40, v40, v41 dst_sel:WORD_1 dst_unused:UNUSED_PAD src0_sel:BYTE_0 src1_sel:DWORD
	v_cndmask_b32_e32 v42, 22, v42, vcc_lo
	v_cmp_ne_u32_e32 vcc_lo, 15, v25
	v_or_b32_sdwa v29, v29, v40 dst_sel:DWORD dst_unused:UNUSED_PAD src0_sel:WORD_0 src1_sel:DWORD
	v_lshlrev_b16 v42, 8, v42
	v_cndmask_b32_e32 v43, 22, v43, vcc_lo
	v_cmp_ne_u32_e32 vcc_lo, 12, v25
	v_lshlrev_b16 v43, 8, v43
	v_cndmask_b32_e32 v44, 22, v20, vcc_lo
	v_cmp_ne_u32_e32 vcc_lo, 14, v25
	v_or_b32_sdwa v41, v44, v42 dst_sel:DWORD dst_unused:UNUSED_PAD src0_sel:BYTE_0 src1_sel:DWORD
	v_cndmask_b32_e32 v45, 22, v45, vcc_lo
	v_cmp_ne_u32_e32 vcc_lo, 9, v25
	v_lshrrev_b32_e32 v44, 24, v24
	v_or_b32_sdwa v43, v45, v43 dst_sel:WORD_1 dst_unused:UNUSED_PAD src0_sel:BYTE_0 src1_sel:DWORD
	v_cndmask_b32_e32 v42, 22, v46, vcc_lo
	v_cmp_ne_u32_e32 vcc_lo, 8, v25
	v_lshrrev_b32_e32 v46, 16, v23
	v_or_b32_sdwa v40, v41, v43 dst_sel:DWORD dst_unused:UNUSED_PAD src0_sel:WORD_0 src1_sel:DWORD
	v_lshlrev_b16 v42, 8, v42
	v_cndmask_b32_e32 v45, 22, v24, vcc_lo
	v_cmp_ne_u32_e32 vcc_lo, 11, v25
	v_or_b32_sdwa v41, v45, v42 dst_sel:DWORD dst_unused:UNUSED_PAD src0_sel:BYTE_0 src1_sel:DWORD
	v_cndmask_b32_e32 v44, 22, v44, vcc_lo
	v_lshrrev_b32_e32 v42, 16, v24
	v_cmp_ne_u32_e32 vcc_lo, 10, v25
	v_lshrrev_b32_e32 v45, 24, v23
	v_lshlrev_b16 v43, 8, v44
	v_lshrrev_b32_e32 v44, 8, v23
	v_cndmask_b32_e32 v42, 22, v42, vcc_lo
	v_cmp_ne_u32_e32 vcc_lo, 5, v25
	v_cndmask_b32_e32 v44, 22, v44, vcc_lo
	v_cmp_ne_u32_e32 vcc_lo, 7, v25
	v_lshlrev_b16 v44, 8, v44
	v_cndmask_b32_e32 v45, 22, v45, vcc_lo
	v_cmp_ne_u32_e32 vcc_lo, 4, v25
	v_lshlrev_b16 v45, 8, v45
	v_cndmask_b32_e32 v47, 22, v23, vcc_lo
	v_cmp_ne_u32_e32 vcc_lo, 6, v25
	v_cndmask_b32_e32 v46, 22, v46, vcc_lo
	v_cmp_eq_u32_e32 vcc_lo, 0, v27
	v_or_b32_sdwa v27, v47, v44 dst_sel:DWORD dst_unused:UNUSED_PAD src0_sel:BYTE_0 src1_sel:DWORD
	v_cndmask_b32_e32 v21, v26, v21, vcc_lo
	v_or_b32_sdwa v26, v42, v43 dst_sel:WORD_1 dst_unused:UNUSED_PAD src0_sel:BYTE_0 src1_sel:DWORD
	v_add_nc_u32_e32 v43, v25, v48
	v_or_b32_sdwa v42, v46, v45 dst_sel:WORD_1 dst_unused:UNUSED_PAD src0_sel:BYTE_0 src1_sel:DWORD
	v_lshrrev_b32_e32 v25, 8, v21
	v_or_b32_sdwa v26, v41, v26 dst_sel:DWORD dst_unused:UNUSED_PAD src0_sel:WORD_0 src1_sel:DWORD
	v_cmp_ne_u32_e64 s4, 1, v43
	v_lshrrev_b32_e32 v41, 24, v21
	v_or_b32_sdwa v27, v27, v42 dst_sel:DWORD dst_unused:UNUSED_PAD src0_sel:WORD_0 src1_sel:DWORD
	v_lshrrev_b32_e32 v42, 16, v21
	v_cndmask_b32_e32 v24, v26, v24, vcc_lo
	v_cndmask_b32_e64 v25, 23, v25, s4
	v_cmp_ne_u32_e64 s4, 3, v43
	v_cndmask_b32_e32 v26, v28, v19, vcc_lo
	v_cndmask_b32_e32 v23, v27, v23, vcc_lo
	;; [unrolled: 1-line block ×3, first 2 shown]
	v_lshlrev_b16 v25, 8, v25
	v_cndmask_b32_e64 v41, 23, v41, s4
	v_cmp_ne_u32_e64 s4, 0, v43
	v_and_b32_e32 v20, 0x800000, v18
	v_cndmask_b32_e32 v28, v29, v22, vcc_lo
	v_lshrrev_b32_e32 v22, 8, v26
	v_lshlrev_b16 v41, 8, v41
	v_cndmask_b32_e64 v44, 23, v21, s4
	v_cmp_ne_u32_e64 s4, 2, v43
	v_cmp_eq_u32_e32 vcc_lo, 0, v20
	v_lshrrev_b32_e32 v29, 8, v28
	v_lshrrev_b32_e32 v40, 16, v26
	v_or_b32_sdwa v19, v44, v25 dst_sel:DWORD dst_unused:UNUSED_PAD src0_sel:BYTE_0 src1_sel:DWORD
	v_cndmask_b32_e64 v42, 23, v42, s4
	v_cmp_ne_u32_e64 s4, 21, v43
	v_lshrrev_b32_e32 v45, 24, v24
	v_lshrrev_b32_e32 v48, 16, v24
	;; [unrolled: 1-line block ×3, first 2 shown]
	v_or_b32_sdwa v25, v42, v41 dst_sel:WORD_1 dst_unused:UNUSED_PAD src0_sel:BYTE_0 src1_sel:DWORD
	v_cndmask_b32_e64 v20, 23, v22, s4
	v_cmp_ne_u32_e64 s4, 23, v43
	v_lshrrev_b32_e32 v41, 24, v28
	v_lshrrev_b32_e32 v50, 24, v23
	v_or_b32_sdwa v19, v19, v25 dst_sel:DWORD dst_unused:UNUSED_PAD src0_sel:WORD_0 src1_sel:DWORD
	v_lshrrev_b32_e32 v25, 24, v26
	v_lshlrev_b16 v20, 8, v20
	v_lshrrev_b32_e32 v51, 16, v23
	v_lshrrev_b32_e32 v46, 16, v27
	v_cndmask_b32_e32 v19, v19, v21, vcc_lo
	v_cndmask_b32_e64 v22, 23, v25, s4
	v_cmp_ne_u32_e64 s4, 20, v43
	v_bfe_u32 v18, v18, 23, 1
	v_lshrrev_b32_e32 v80, 16, v19
	v_lshlrev_b16 v22, 8, v22
	v_cndmask_b32_e64 v25, 23, v26, s4
	v_cmp_ne_u32_e64 s4, 17, v43
	v_lshrrev_b32_e32 v76, 8, v19
	v_or_b32_sdwa v20, v25, v20 dst_sel:DWORD dst_unused:UNUSED_PAD src0_sel:BYTE_0 src1_sel:DWORD
	v_cndmask_b32_e64 v29, 23, v29, s4
	v_cmp_ne_u32_e64 s4, 22, v43
	v_lshrrev_b32_e32 v25, 8, v27
	v_lshlrev_b16 v29, 8, v29
	v_cndmask_b32_e64 v40, 23, v40, s4
	v_cmp_ne_u32_e64 s4, 16, v43
	v_or_b32_sdwa v22, v40, v22 dst_sel:WORD_1 dst_unused:UNUSED_PAD src0_sel:BYTE_0 src1_sel:DWORD
	v_cndmask_b32_e64 v42, 23, v28, s4
	v_cmp_ne_u32_e64 s4, 19, v43
	v_or_b32_sdwa v29, v42, v29 dst_sel:DWORD dst_unused:UNUSED_PAD src0_sel:BYTE_0 src1_sel:DWORD
	v_cndmask_b32_e64 v41, 23, v41, s4
	v_cmp_ne_u32_e64 s4, 13, v43
	v_lshrrev_b32_e32 v42, 24, v27
	v_lshlrev_b16 v40, 8, v41
	v_cndmask_b32_e64 v25, 23, v25, s4
	v_cmp_ne_u32_e64 s4, 12, v43
	v_lshrrev_b32_e32 v41, 16, v28
	v_lshlrev_b16 v25, 8, v25
	v_cndmask_b32_e64 v44, 23, v27, s4
	v_cmp_ne_u32_e64 s4, 15, v43
	v_or_b32_sdwa v25, v44, v25 dst_sel:DWORD dst_unused:UNUSED_PAD src0_sel:BYTE_0 src1_sel:DWORD
	v_cndmask_b32_e64 v42, 23, v42, s4
	v_cmp_ne_u32_e64 s4, 18, v43
	v_lshrrev_b32_e32 v44, 8, v24
	v_lshlrev_b16 v42, 8, v42
	v_cndmask_b32_e64 v41, 23, v41, s4
	v_cmp_ne_u32_e64 s4, 9, v43
	v_or_b32_sdwa v40, v41, v40 dst_sel:WORD_1 dst_unused:UNUSED_PAD src0_sel:BYTE_0 src1_sel:DWORD
	v_cndmask_b32_e64 v44, 23, v44, s4
	v_cmp_ne_u32_e64 s4, 11, v43
	v_or_b32_sdwa v41, v20, v22 dst_sel:DWORD dst_unused:UNUSED_PAD src0_sel:WORD_0 src1_sel:DWORD
	v_or_b32_sdwa v29, v29, v40 dst_sel:DWORD dst_unused:UNUSED_PAD src0_sel:WORD_0 src1_sel:DWORD
	v_lshlrev_b16 v44, 8, v44
	v_cndmask_b32_e64 v45, 23, v45, s4
	v_cmp_ne_u32_e64 s4, 8, v43
	v_lshlrev_b16 v45, 8, v45
	v_cndmask_b32_e64 v47, 23, v24, s4
	v_cmp_ne_u32_e64 s4, 10, v43
	v_or_b32_sdwa v44, v47, v44 dst_sel:DWORD dst_unused:UNUSED_PAD src0_sel:BYTE_0 src1_sel:DWORD
	v_cndmask_b32_e64 v48, 23, v48, s4
	v_cmp_ne_u32_e64 s4, 5, v43
	v_or_b32_sdwa v45, v48, v45 dst_sel:WORD_1 dst_unused:UNUSED_PAD src0_sel:BYTE_0 src1_sel:DWORD
	v_cndmask_b32_e64 v49, 23, v49, s4
	v_cmp_ne_u32_e64 s4, 7, v43
	v_or_b32_sdwa v22, v44, v45 dst_sel:DWORD dst_unused:UNUSED_PAD src0_sel:WORD_0 src1_sel:DWORD
	v_lshlrev_b16 v49, 8, v49
	v_cndmask_b32_e64 v50, 23, v50, s4
	v_cmp_ne_u32_e64 s4, 4, v43
	v_cndmask_b32_e32 v21, v22, v24, vcc_lo
	v_lshlrev_b16 v50, 8, v50
	v_cndmask_b32_e64 v52, 23, v23, s4
	v_cmp_ne_u32_e64 s4, 6, v43
	v_lshrrev_b32_e32 v72, 16, v21
	v_lshrrev_b32_e32 v81, 8, v21
	v_or_b32_sdwa v47, v52, v49 dst_sel:DWORD dst_unused:UNUSED_PAD src0_sel:BYTE_0 src1_sel:DWORD
	v_cndmask_b32_e64 v51, 23, v51, s4
	v_cmp_ne_u32_e64 s4, 14, v43
	v_or_b32_sdwa v49, v51, v50 dst_sel:WORD_1 dst_unused:UNUSED_PAD src0_sel:BYTE_0 src1_sel:DWORD
	v_cndmask_b32_e64 v46, 23, v46, s4
	v_or_b32_sdwa v20, v47, v49 dst_sel:DWORD dst_unused:UNUSED_PAD src0_sel:WORD_0 src1_sel:DWORD
	v_or_b32_sdwa v42, v46, v42 dst_sel:WORD_1 dst_unused:UNUSED_PAD src0_sel:BYTE_0 src1_sel:DWORD
	v_cndmask_b32_e32 v20, v20, v23, vcc_lo
	v_or_b32_sdwa v25, v25, v42 dst_sel:DWORD dst_unused:UNUSED_PAD src0_sel:WORD_0 src1_sel:DWORD
	v_lshrrev_b32_e32 v78, 24, v20
	v_cndmask_b32_e32 v22, v25, v27, vcc_lo
	v_cndmask_b32_e32 v27, v29, v28, vcc_lo
	;; [unrolled: 1-line block ×3, first 2 shown]
	v_lshrrev_b64 v[25:26], 24, v[19:20]
	v_lshrrev_b32_e32 v79, 16, v20
	v_lshrrev_b64 v[23:24], 24, v[21:22]
	v_lshrrev_b32_e32 v77, 8, v20
	;; [unrolled: 2-line block ×3, first 2 shown]
	v_lshrrev_b32_e32 v75, 16, v22
	v_lshrrev_b32_e32 v83, 8, v22
	;; [unrolled: 1-line block ×3, first 2 shown]
	v_add_nc_u32_e32 v41, v43, v18
	v_lshrrev_b32_e32 v85, 8, v27
	v_lshrrev_b32_e32 v84, 24, v28
	;; [unrolled: 1-line block ×4, first 2 shown]
	v_cmpx_ne_u32_e32 0, v41
	s_cbranch_execz .LBB1_314
; %bb.285:
	v_add_f64 v[45:46], v[34:35], v[34:35]
	v_mov_b32_e32 v42, 0
	v_mov_b32_e32 v18, 3
	s_mov_b32 s6, 0x55555555
	s_mov_b64 s[4:5], 0
	s_mov_b32 s7, 0x3fd55555
	v_mul_f64 v[43:44], v[45:46], 0.5
	v_fma_f64 v[49:50], v[45:46], 0.5, 0
	v_fma_f64 v[47:48], v[43:44], 0.5, v[8:9]
	;; [unrolled: 1-line block ×3, first 2 shown]
	v_fma_f64 v[51:52], v[43:44], v[47:48], 0
	v_fma_f64 v[45:46], v[45:46], 0.5, v[49:50]
	v_fma_f64 v[51:52], v[43:44], v[47:48], v[51:52]
	v_fma_f64 v[47:48], v[43:44], v[47:48], v[51:52]
	s_branch .LBB1_288
.LBB1_286:                              ;   in Loop: Header=BB1_288 Depth=1
	s_or_b32 exec_lo, exec_lo, s11
	v_mov_b32_e32 v65, v24
	v_mov_b32_e32 v24, v29
.LBB1_287:                              ;   in Loop: Header=BB1_288 Depth=1
	s_or_b32 exec_lo, exec_lo, s10
	v_lshl_add_u32 v24, v24, 3, 0xd0
	v_lshl_add_u32 v26, v65, 3, 0xd0
	s_waitcnt vmcnt(12)
	v_add_f64 v[49:50], v[49:50], v[55:56]
	s_waitcnt vmcnt(4)
	v_add_f64 v[55:56], v[57:58], v[63:64]
	s_add_u32 s4, s4, 1
	s_clause 0x7
	buffer_load_dword v67, v24, s[0:3], 0 offen offset:68
	buffer_load_dword v66, v24, s[0:3], 0 offen offset:64
	buffer_load_dword v71, v24, s[0:3], 0 offen offset:4
	buffer_load_dword v88, v26, s[0:3], 0 offen offset:68
	buffer_load_dword v87, v26, s[0:3], 0 offen offset:64
	buffer_load_dword v70, v24, s[0:3], 0 offen
	buffer_load_dword v89, v26, s[0:3], 0 offen
	buffer_load_dword v90, v26, s[0:3], 0 offen offset:4
	s_addc_u32 s5, s5, 0
	v_cmp_eq_u64_e32 vcc_lo, s[4:5], v[41:42]
	s_or_b32 s9, vcc_lo, s9
	v_add_f64 v[49:50], v[49:50], v[53:54]
	s_waitcnt vmcnt(10)
	v_add_f64 v[53:54], v[55:56], v[61:62]
	v_add_f64 v[49:50], v[49:50], v[51:52]
	s_waitcnt vmcnt(8)
	v_add_f64 v[51:52], v[53:54], v[59:60]
	v_fma_f64 v[49:50], 0x3fd00000, v[49:50], -v[0:1]
	v_fma_f64 v[51:52], 0x3fd00000, v[51:52], -v[4:5]
	v_mul_f64 v[49:50], v[32:33], v[49:50]
	s_waitcnt vmcnt(3)
	v_add_f64 v[55:56], v[87:88], -v[4:5]
	s_waitcnt vmcnt(2)
	v_add_f64 v[57:58], v[70:71], -v[0:1]
	v_add_f64 v[53:54], v[66:67], -v[4:5]
	s_waitcnt vmcnt(0)
	v_add_f64 v[59:60], v[89:90], -v[0:1]
	v_mul_f64 v[61:62], v[6:7], v[55:56]
	v_fma_f64 v[63:64], -v[32:33], v[57:58], v[49:50]
	v_mul_f64 v[53:54], v[6:7], v[53:54]
	v_mul_f64 v[67:68], v[32:33], v[59:60]
	v_fma_f64 v[70:71], v[32:33], v[59:60], v[49:50]
	v_fma_f64 v[59:60], v[32:33], v[59:60], -v[49:50]
	v_fma_f64 v[89:90], v[32:33], v[57:58], v[49:50]
	v_fma_f64 v[87:88], v[6:7], v[51:52], v[61:62]
	;; [unrolled: 1-line block ×5, first 2 shown]
	v_fma_f64 v[91:92], v[32:33], v[57:58], -v[67:68]
	v_mul_f64 v[63:64], v[63:64], v[65:66]
	v_fma_f64 v[65:66], v[38:39], v[65:66], v[4:5]
	v_fma_f64 v[70:71], v[43:44], v[70:71], 0
	;; [unrolled: 1-line block ×6, first 2 shown]
	v_mul_f64 v[57:58], v[32:33], v[57:58]
	v_fma_f64 v[59:60], v[91:92], v[55:56], v[59:60]
	v_fma_f64 v[63:64], v[43:44], v[63:64], 0
	v_fma_f64 v[55:56], v[38:39], v[55:56], v[4:5]
	v_fma_f64 v[89:90], v[36:37], v[89:90], v[0:1]
	v_fma_f64 v[70:71], v[43:44], v[87:88], v[70:71]
	ds_write2_b64 v69, v[67:68], v[57:58] offset1:2
	ds_write2_b64 v69, v[61:62], v[53:54] offset0:10 offset1:12
	ds_write2_b64 v69, v[34:35], v[34:35] offset0:20 offset1:22
	v_mul_f64 v[59:60], v[59:60], 0.5
	v_fma_f64 v[63:64], v[43:44], v[65:66], v[63:64]
	v_fma_f64 v[65:66], v[43:44], v[89:90], v[70:71]
	v_mul_f64 v[59:60], v[59:60], s[6:7]
	v_fma_f64 v[55:56], v[43:44], v[55:56], v[63:64]
	v_fma_f64 v[63:64], v[45:46], v[59:60], 0
	v_fma_f64 v[65:66], v[65:66], v[59:60], 0
	v_fma_f64 v[55:56], v[59:60], v[55:56], 0
	v_fma_f64 v[59:60], v[47:48], v[59:60], 0
	v_fma_f64 v[14:15], v[2:3], v[63:64], v[14:15]
	v_fma_f64 v[16:17], v[2:3], v[65:66], v[16:17]
	v_fma_f64 v[10:11], v[2:3], v[55:56], v[10:11]
	v_fma_f64 v[12:13], v[2:3], v[59:60], v[12:13]
	s_andn2_b32 exec_lo, exec_lo, s9
	s_cbranch_execz .LBB1_313
.LBB1_288:                              ; =>This Inner Loop Header: Depth=1
	s_cmp_eq_u32 s4, 1
	s_mov_b32 s10, exec_lo
	s_cselect_b32 vcc_lo, -1, 0
	s_cmp_eq_u32 s4, 2
	v_cndmask_b32_e32 v24, v19, v76, vcc_lo
	s_cselect_b32 vcc_lo, -1, 0
	s_cmp_eq_u32 s4, 3
                                        ; implicit-def: $vgpr66
                                        ; implicit-def: $vgpr52
                                        ; implicit-def: $vgpr26
                                        ; implicit-def: $vgpr51
                                        ; implicit-def: $vgpr29
                                        ; implicit-def: $vgpr53
                                        ; implicit-def: $vgpr50
	v_cndmask_b32_e32 v24, v24, v80, vcc_lo
	s_cselect_b32 vcc_lo, -1, 0
	s_cmp_eq_u32 s4, 4
	v_cndmask_b32_e32 v24, v24, v25, vcc_lo
	s_cselect_b32 vcc_lo, -1, 0
	s_cmp_eq_u32 s4, 5
	;; [unrolled: 3-line block ×20, first 2 shown]
	v_cndmask_b32_e32 v24, v24, v74, vcc_lo
	s_cselect_b32 vcc_lo, -1, 0
	v_cndmask_b32_e32 v65, v24, v84, vcc_lo
	v_bfe_u32 v24, v65, 2, 6
	v_cmpx_lt_i32_e32 1, v24
	s_xor_b32 s10, exec_lo, s10
	s_cbranch_execz .LBB1_300
; %bb.289:                              ;   in Loop: Header=BB1_288 Depth=1
	s_mov_b32 s11, exec_lo
                                        ; implicit-def: $vgpr66
                                        ; implicit-def: $vgpr52
                                        ; implicit-def: $vgpr26
                                        ; implicit-def: $vgpr51
                                        ; implicit-def: $vgpr29
                                        ; implicit-def: $vgpr53
                                        ; implicit-def: $vgpr50
	v_cmpx_lt_i32_e32 2, v24
	s_xor_b32 s11, exec_lo, s11
	s_cbranch_execz .LBB1_297
; %bb.290:                              ;   in Loop: Header=BB1_288 Depth=1
	s_mov_b32 s12, exec_lo
                                        ; implicit-def: $vgpr66
                                        ; implicit-def: $vgpr52
                                        ; implicit-def: $vgpr26
                                        ; implicit-def: $vgpr51
                                        ; implicit-def: $vgpr29
                                        ; implicit-def: $vgpr53
                                        ; implicit-def: $vgpr50
	v_cmpx_lt_i32_e32 3, v24
	s_xor_b32 s12, exec_lo, s12
	s_cbranch_execz .LBB1_294
; %bb.291:                              ;   in Loop: Header=BB1_288 Depth=1
	s_mov_b32 s13, exec_lo
	v_cmpx_ne_u32_e32 4, v24
	s_xor_b32 s13, exec_lo, s13
	s_or_saveexec_b32 s13, s13
	v_mov_b32_e32 v24, 4
	v_mov_b32_e32 v29, 6
	;; [unrolled: 1-line block ×8, first 2 shown]
	s_xor_b32 exec_lo, exec_lo, s13
	s_cbranch_execz .LBB1_293
; %bb.292:                              ;   in Loop: Header=BB1_288 Depth=1
	v_mov_b32_e32 v24, 0
	v_mov_b32_e32 v29, 1
	;; [unrolled: 1-line block ×8, first 2 shown]
.LBB1_293:                              ;   in Loop: Header=BB1_288 Depth=1
	s_or_b32 exec_lo, exec_lo, s13
.LBB1_294:                              ;   in Loop: Header=BB1_288 Depth=1
	s_andn2_saveexec_b32 s12, s12
	s_cbranch_execz .LBB1_296
; %bb.295:                              ;   in Loop: Header=BB1_288 Depth=1
	v_mov_b32_e32 v24, 2
	v_mov_b32_e32 v29, 3
	;; [unrolled: 1-line block ×8, first 2 shown]
.LBB1_296:                              ;   in Loop: Header=BB1_288 Depth=1
	s_or_b32 exec_lo, exec_lo, s12
.LBB1_297:                              ;   in Loop: Header=BB1_288 Depth=1
	s_andn2_saveexec_b32 s11, s11
	s_cbranch_execz .LBB1_299
; %bb.298:                              ;   in Loop: Header=BB1_288 Depth=1
	v_mov_b32_e32 v24, 0
	v_mov_b32_e32 v29, 4
	;; [unrolled: 1-line block ×8, first 2 shown]
.LBB1_299:                              ;   in Loop: Header=BB1_288 Depth=1
	s_or_b32 exec_lo, exec_lo, s11
.LBB1_300:                              ;   in Loop: Header=BB1_288 Depth=1
	s_andn2_saveexec_b32 s10, s10
	s_cbranch_execz .LBB1_304
; %bb.301:                              ;   in Loop: Header=BB1_288 Depth=1
	v_mov_b32_e32 v29, 2
	v_mov_b32_e32 v26, 6
	;; [unrolled: 1-line block ×7, first 2 shown]
	s_mov_b32 s11, exec_lo
	v_cmpx_lt_i32_e32 0, v24
	s_cbranch_execz .LBB1_303
; %bb.302:                              ;   in Loop: Header=BB1_288 Depth=1
	v_mov_b32_e32 v24, 1
	v_mov_b32_e32 v29, 5
	;; [unrolled: 1-line block ×8, first 2 shown]
.LBB1_303:                              ;   in Loop: Header=BB1_288 Depth=1
	s_or_b32 exec_lo, exec_lo, s11
.LBB1_304:                              ;   in Loop: Header=BB1_288 Depth=1
	s_or_b32 exec_lo, exec_lo, s10
	v_lshl_add_u32 v58, v24, 3, 0xd0
	v_lshl_add_u32 v59, v29, 3, 0xd0
	;; [unrolled: 1-line block ×3, first 2 shown]
	s_clause 0x7
	buffer_load_dword v49, v50, s[0:3], 0 offen
	buffer_load_dword v50, v50, s[0:3], 0 offen offset:4
	buffer_load_dword v55, v53, s[0:3], 0 offen
	buffer_load_dword v56, v53, s[0:3], 0 offen offset:4
	;; [unrolled: 2-line block ×4, first 2 shown]
	v_lshl_add_u32 v67, v66, 3, 0xd0
	s_clause 0x7
	buffer_load_dword v57, v58, s[0:3], 0 offen offset:64
	buffer_load_dword v58, v58, s[0:3], 0 offen offset:68
	;; [unrolled: 1-line block ×8, first 2 shown]
	v_and_b32_sdwa v67, v65, v18 dst_sel:DWORD dst_unused:UNUSED_PAD src0_sel:BYTE_0 src1_sel:DWORD
	s_mov_b32 s10, exec_lo
                                        ; implicit-def: $vgpr65
	v_cmpx_lt_i32_e32 1, v67
	s_xor_b32 s10, exec_lo, s10
	s_cbranch_execz .LBB1_310
; %bb.305:                              ;   in Loop: Header=BB1_288 Depth=1
	s_mov_b32 s11, exec_lo
	v_cmpx_lt_i32_e32 2, v67
	s_xor_b32 s11, exec_lo, s11
; %bb.306:                              ;   in Loop: Header=BB1_288 Depth=1
                                        ; implicit-def: $vgpr26
; %bb.307:                              ;   in Loop: Header=BB1_288 Depth=1
	s_or_saveexec_b32 s11, s11
	v_mov_b32_e32 v65, v66
	s_xor_b32 exec_lo, exec_lo, s11
; %bb.308:                              ;   in Loop: Header=BB1_288 Depth=1
	v_mov_b32_e32 v65, v26
	v_mov_b32_e32 v24, v66
; %bb.309:                              ;   in Loop: Header=BB1_288 Depth=1
	s_or_b32 exec_lo, exec_lo, s11
                                        ; implicit-def: $vgpr29
                                        ; implicit-def: $vgpr26
                                        ; implicit-def: $vgpr67
.LBB1_310:                              ;   in Loop: Header=BB1_288 Depth=1
	s_andn2_saveexec_b32 s10, s10
	s_cbranch_execz .LBB1_287
; %bb.311:                              ;   in Loop: Header=BB1_288 Depth=1
	s_mov_b32 s11, exec_lo
	v_cmpx_eq_u32_e32 1, v67
	s_cbranch_execz .LBB1_286
; %bb.312:                              ;   in Loop: Header=BB1_288 Depth=1
	v_mov_b32_e32 v24, v29
	v_mov_b32_e32 v29, v26
	s_branch .LBB1_286
.LBB1_313:
	s_or_b32 exec_lo, exec_lo, s9
	v_mul_f64 v[41:42], v[6:7], v[51:52]
	ds_write2_b64 v69, v[49:50], v[41:42] offset0:1 offset1:11
	ds_write_b64 v69, v[34:35] offset:168
.LBB1_314:
	s_or_b32 exec_lo, exec_lo, s8
	buffer_load_dword v93, off, s[0:3], 0
	s_mov_b32 s9, 0
	s_mov_b32 s8, exec_lo
	s_waitcnt vmcnt(0)
	v_and_b32_e32 v92, 1, v93
	v_bfe_u32 v18, v93, 1, 1
	v_bfe_u32 v24, v93, 2, 1
	v_add_nc_u32_e32 v91, v18, v92
	v_bfe_u32 v18, v93, 3, 1
	v_add_nc_u32_e32 v90, v91, v24
	;; [unrolled: 2-line block ×22, first 2 shown]
	v_add_nc_u32_e32 v18, v24, v18
	v_cmpx_ne_u32_e32 0, v18
	s_cbranch_execz .LBB1_344
; %bb.315:
	v_perm_b32 v25, v80, v25, 0xc0c0004
	v_perm_b32 v19, v19, v76, 0xc0c0004
	v_lshlrev_b16 v76, 8, v76
	v_cmp_eq_u32_e32 vcc_lo, 0, v92
	v_lshlrev_b16 v85, 8, v85
	v_lshlrev_b32_e32 v25, 16, v25
	v_lshlrev_b16 v80, 8, v81
	v_perm_b32 v81, v75, v82, 0xc0c0004
	v_perm_b32 v40, v73, v40, 0xc0c0004
	v_or_b32_sdwa v85, v27, v85 dst_sel:DWORD dst_unused:UNUSED_PAD src0_sel:BYTE_0 src1_sel:DWORD
	v_or_b32_e32 v19, v19, v25
	v_or_b32_sdwa v25, v76, v25 dst_sel:DWORD dst_unused:UNUSED_PAD src0_sel:WORD_0 src1_sel:DWORD
	v_perm_b32 v86, v28, v86, 0xc0c0004
	v_cmp_ne_u32_e64 s4, 19, v92
	v_and_b32_e32 v97, 0xffff, v85
	v_perm_b32 v22, v22, v83, 0xc0c0004
	v_cndmask_b32_e32 v19, v25, v19, vcc_lo
	v_lshrrev_b32_e32 v98, 8, v86
	v_and_b32_e32 v73, 0xff, v73
	v_lshl_or_b32 v25, v40, 16, v97
	v_lshrrev_b32_e32 v40, 8, v40
	v_lshrrev_b32_e32 v82, 8, v19
	;; [unrolled: 1-line block ×3, first 2 shown]
	v_cndmask_b32_e64 v100, v19, 1, vcc_lo
	v_lshrrev_b32_e32 v101, 16, v19
	v_cndmask_b32_e64 v40, 1, v40, s4
	v_cndmask_b32_e32 v82, 1, v82, vcc_lo
	v_cmp_ne_u32_e32 vcc_lo, 3, v92
	v_cmp_ne_u32_e64 s4, 18, v92
	v_perm_b32 v84, v74, v84, 0xc0c0004
	v_lshrrev_b32_e32 v83, 8, v22
	v_lshlrev_b16 v82, 8, v82
	v_cndmask_b32_e32 v99, 1, v99, vcc_lo
	v_cmp_ne_u32_e32 vcc_lo, 2, v92
	v_cndmask_b32_e64 v73, 1, v73, s4
	v_cmp_ne_u32_e64 s4, 13, v92
	v_or_b32_sdwa v82, v100, v82 dst_sel:DWORD dst_unused:UNUSED_PAD src0_sel:BYTE_0 src1_sel:DWORD
	v_and_b32_e32 v94, 2, v93
	v_cndmask_b32_e32 v100, 1, v101, vcc_lo
	v_cmp_ne_u32_e32 vcc_lo, 21, v92
	v_and_b32_e32 v95, 4, v93
	v_and_b32_e32 v96, 8, v93
	;; [unrolled: 1-line block ×4, first 2 shown]
	v_cndmask_b32_e32 v98, 1, v98, vcc_lo
	v_cmp_ne_u32_e32 vcc_lo, 20, v92
	v_and_b32_e32 v70, 64, v93
	v_and_b32_e32 v67, 0x80, v93
	;; [unrolled: 1-line block ×18, first 2 shown]
	v_lshl_or_b32 v93, v84, 16, v86
	v_or_b32_sdwa v21, v21, v80 dst_sel:DWORD dst_unused:UNUSED_PAD src0_sel:BYTE_0 src1_sel:DWORD
	v_lshrrev_b32_e32 v84, 8, v84
	v_cndmask_b32_e32 v86, 1, v86, vcc_lo
	v_cmp_ne_u32_e32 vcc_lo, 23, v92
	v_cndmask_b32_e64 v83, 1, v83, s4
	v_cmp_ne_u32_e64 s4, 12, v92
	v_perm_b32 v23, v72, v23, 0xc0c0004
	v_perm_b32 v78, v79, v78, 0xc0c0004
	v_and_b32_e32 v76, 0xffff, v21
	v_lshl_or_b32 v79, v81, 16, v22
	v_and_b32_e32 v75, 0xff, v75
	v_and_b32_e32 v74, 0xff, v74
	v_cndmask_b32_e32 v84, 1, v84, vcc_lo
	v_cmp_ne_u32_e32 vcc_lo, 22, v92
	v_cndmask_b32_e64 v22, 1, v22, s4
	v_cmp_ne_u32_e64 s4, 14, v92
	v_lshl_or_b32 v80, v23, 16, v76
	v_lshrrev_b32_e32 v97, 8, v97
	v_cndmask_b32_e32 v74, 1, v74, vcc_lo
	v_cmp_ne_u32_e32 vcc_lo, 17, v92
	v_lshrrev_b32_e32 v76, 8, v76
	v_cndmask_b32_e64 v75, 1, v75, s4
	v_cmp_ne_u32_e64 s4, 9, v92
	v_perm_b32 v20, v20, v77, 0xc0c0004
	v_lshlrev_b32_e32 v77, 16, v78
	v_lshrrev_b32_e32 v81, 8, v81
	v_lshlrev_b16 v84, 8, v84
	v_cndmask_b32_e32 v97, 1, v97, vcc_lo
	v_cmp_ne_u32_e32 vcc_lo, 16, v92
	v_cndmask_b32_e64 v76, 1, v76, s4
	v_cmp_ne_u32_e64 s4, 15, v92
	v_or_b32_e32 v77, v20, v77
	v_or_b32_sdwa v74, v74, v84 dst_sel:WORD_1 dst_unused:UNUSED_PAD src0_sel:DWORD src1_sel:DWORD
	v_cndmask_b32_e32 v84, 1, v85, vcc_lo
	v_lshlrev_b16 v85, 8, v97
	v_cndmask_b32_e64 v81, 1, v81, s4
	v_cmp_ne_u32_e64 s4, 8, v92
	v_and_b32_e32 v72, 0xff, v72
	v_lshlrev_b16 v98, 8, v98
	v_or_b32_sdwa v84, v84, v85 dst_sel:DWORD dst_unused:UNUSED_PAD src0_sel:BYTE_0 src1_sel:DWORD
	v_lshrrev_b32_e32 v85, 8, v77
	v_cndmask_b32_e64 v21, 1, v21, s4
	v_cmp_ne_u32_e64 s4, 5, v92
	v_lshlrev_b16 v99, 8, v99
	v_or_b32_sdwa v86, v86, v98 dst_sel:DWORD dst_unused:UNUSED_PAD src0_sel:BYTE_0 src1_sel:DWORD
	v_lshrrev_b32_e32 v23, 8, v23
	v_cmp_eq_u32_e32 vcc_lo, 0, v94
	v_cndmask_b32_e64 v85, 1, v85, s4
	v_cmp_ne_u32_e64 s4, 10, v92
	v_or_b32_sdwa v99, v100, v99 dst_sel:WORD_1 dst_unused:UNUSED_PAD src0_sel:BYTE_0 src1_sel:DWORD
	v_or_b32_sdwa v74, v86, v74 dst_sel:DWORD dst_unused:UNUSED_PAD src0_sel:WORD_0 src1_sel:DWORD
	v_bfe_u32 v86, v78, 8, 8
	v_lshlrev_b16 v40, 8, v40
	v_cndmask_b32_e64 v72, 1, v72, s4
	v_cmp_ne_u32_e64 s4, 11, v92
	v_or_b32_sdwa v82, v82, v99 dst_sel:DWORD dst_unused:UNUSED_PAD src0_sel:WORD_0 src1_sel:DWORD
	v_lshlrev_b16 v76, 8, v76
	v_lshlrev_b16 v83, 8, v83
	;; [unrolled: 1-line block ×3, first 2 shown]
	v_cndmask_b32_e64 v23, 1, v23, s4
	v_cmp_ne_u32_e64 s4, 7, v92
	v_or_b32_sdwa v21, v21, v76 dst_sel:DWORD dst_unused:UNUSED_PAD src0_sel:BYTE_0 src1_sel:DWORD
	v_or_b32_sdwa v40, v73, v40 dst_sel:WORD_1 dst_unused:UNUSED_PAD src0_sel:DWORD src1_sel:DWORD
	v_cndmask_b32_e32 v19, v82, v19, vcc_lo
	v_lshlrev_b16 v23, 8, v23
	v_cndmask_b32_e64 v86, 1, v86, s4
	v_cmp_ne_u32_e64 s4, 4, v92
	v_lshlrev_b16 v85, 8, v85
	v_or_b32_sdwa v22, v22, v83 dst_sel:DWORD dst_unused:UNUSED_PAD src0_sel:BYTE_0 src1_sel:DWORD
	v_or_b32_sdwa v23, v72, v23 dst_sel:WORD_1 dst_unused:UNUSED_PAD src0_sel:DWORD src1_sel:DWORD
	v_lshlrev_b16 v86, 8, v86
	v_cndmask_b32_e64 v20, 1, v20, s4
	v_cmp_ne_u32_e64 s4, 6, v92
	v_or_b32_sdwa v72, v75, v81 dst_sel:WORD_1 dst_unused:UNUSED_PAD src0_sel:DWORD src1_sel:DWORD
	v_or_b32_sdwa v21, v21, v23 dst_sel:DWORD dst_unused:UNUSED_PAD src0_sel:WORD_0 src1_sel:DWORD
	v_or_b32_sdwa v23, v84, v40 dst_sel:DWORD dst_unused:UNUSED_PAD src0_sel:WORD_0 src1_sel:DWORD
	v_lshrrev_b32_e32 v40, 8, v19
	v_cndmask_b32_e64 v78, 1, v78, s4
	v_cmp_ne_u32_e64 s4, 1, v91
	v_or_b32_sdwa v20, v20, v85 dst_sel:DWORD dst_unused:UNUSED_PAD src0_sel:BYTE_0 src1_sel:DWORD
	v_or_b32_sdwa v22, v22, v72 dst_sel:DWORD dst_unused:UNUSED_PAD src0_sel:WORD_0 src1_sel:DWORD
	v_lshrrev_b32_e32 v72, 24, v19
	v_or_b32_sdwa v76, v78, v86 dst_sel:WORD_1 dst_unused:UNUSED_PAD src0_sel:BYTE_0 src1_sel:DWORD
	v_cndmask_b32_e64 v40, 2, v40, s4
	v_cmp_ne_u32_e64 s4, 3, v91
	v_cndmask_b32_e32 v73, v74, v93, vcc_lo
	v_cndmask_b32_e32 v21, v21, v80, vcc_lo
	v_or_b32_sdwa v20, v20, v76 dst_sel:DWORD dst_unused:UNUSED_PAD src0_sel:WORD_0 src1_sel:DWORD
	v_cndmask_b32_e32 v22, v22, v79, vcc_lo
	v_cndmask_b32_e64 v72, 2, v72, s4
	v_cmp_ne_u32_e64 s4, 0, v91
	v_lshrrev_b32_e32 v74, 16, v19
	v_cndmask_b32_e32 v20, v20, v77, vcc_lo
	v_lshlrev_b16 v40, 8, v40
	v_cndmask_b32_e32 v23, v23, v25, vcc_lo
	v_cndmask_b32_e64 v75, 2, v19, s4
	v_cmp_ne_u32_e64 s4, 2, v91
	v_lshrrev_b32_e32 v25, 8, v73
	v_cmp_ne_u32_e32 vcc_lo, 21, v91
	v_lshlrev_b16 v72, 8, v72
	v_or_b32_sdwa v40, v75, v40 dst_sel:DWORD dst_unused:UNUSED_PAD src0_sel:BYTE_0 src1_sel:DWORD
	v_cndmask_b32_e64 v74, 2, v74, s4
	v_lshrrev_b32_e32 v75, 24, v73
	v_cndmask_b32_e32 v25, 2, v25, vcc_lo
	v_cmp_ne_u32_e32 vcc_lo, 23, v91
	v_lshrrev_b32_e32 v76, 16, v73
	v_or_b32_sdwa v72, v74, v72 dst_sel:WORD_1 dst_unused:UNUSED_PAD src0_sel:BYTE_0 src1_sel:DWORD
	v_lshrrev_b32_e32 v77, 8, v23
	v_lshlrev_b16 v25, 8, v25
	v_cndmask_b32_e32 v74, 2, v75, vcc_lo
	v_cmp_ne_u32_e32 vcc_lo, 20, v91
	v_or_b32_sdwa v40, v40, v72 dst_sel:DWORD dst_unused:UNUSED_PAD src0_sel:WORD_0 src1_sel:DWORD
	v_cmp_ne_u32_e64 s4, 18, v91
	v_lshrrev_b32_e32 v79, 8, v21
	v_lshlrev_b16 v74, 8, v74
	v_cndmask_b32_e32 v75, 2, v73, vcc_lo
	v_cmp_ne_u32_e32 vcc_lo, 22, v91
	v_lshrrev_b32_e32 v80, 24, v21
	v_lshrrev_b32_e32 v83, 16, v21
	;; [unrolled: 1-line block ×3, first 2 shown]
	v_or_b32_sdwa v25, v75, v25 dst_sel:DWORD dst_unused:UNUSED_PAD src0_sel:BYTE_0 src1_sel:DWORD
	v_cndmask_b32_e32 v76, 2, v76, vcc_lo
	v_cmp_ne_u32_e32 vcc_lo, 17, v91
	v_lshrrev_b32_e32 v85, 24, v20
	v_lshrrev_b32_e32 v75, 24, v23
	;; [unrolled: 1-line block ×3, first 2 shown]
	v_or_b32_sdwa v74, v76, v74 dst_sel:WORD_1 dst_unused:UNUSED_PAD src0_sel:BYTE_0 src1_sel:DWORD
	v_cndmask_b32_e32 v72, 2, v77, vcc_lo
	v_cmp_ne_u32_e32 vcc_lo, 16, v91
	v_lshrrev_b32_e32 v77, 24, v22
	v_lshrrev_b32_e32 v81, 16, v22
	v_or_b32_sdwa v25, v25, v74 dst_sel:DWORD dst_unused:UNUSED_PAD src0_sel:WORD_0 src1_sel:DWORD
	v_lshlrev_b16 v72, 8, v72
	v_cndmask_b32_e32 v76, 2, v23, vcc_lo
	v_lshrrev_b32_e32 v74, 16, v23
	v_cmp_ne_u32_e32 vcc_lo, 19, v91
	s_mov_b32 s6, 0x55555555
	s_mov_b32 s7, 0x3fd55555
	v_or_b32_sdwa v72, v76, v72 dst_sel:DWORD dst_unused:UNUSED_PAD src0_sel:BYTE_0 src1_sel:DWORD
	v_lshrrev_b32_e32 v76, 8, v22
	v_cndmask_b32_e64 v74, 2, v74, s4
	v_cmp_ne_u32_e64 s4, 13, v91
	v_cndmask_b32_e32 v75, 2, v75, vcc_lo
	v_cmp_eq_u32_e32 vcc_lo, 0, v95
	v_cndmask_b32_e64 v76, 2, v76, s4
	v_cmp_ne_u32_e64 s4, 15, v91
	v_lshlrev_b16 v75, 8, v75
	v_cndmask_b32_e32 v19, v40, v19, vcc_lo
	v_cndmask_b32_e32 v25, v25, v73, vcc_lo
	v_lshlrev_b16 v76, 8, v76
	v_cndmask_b32_e64 v77, 2, v77, s4
	v_cmp_ne_u32_e64 s4, 12, v91
	v_or_b32_sdwa v74, v74, v75 dst_sel:WORD_1 dst_unused:UNUSED_PAD src0_sel:BYTE_0 src1_sel:DWORD
	v_lshlrev_b16 v77, 8, v77
	v_cndmask_b32_e64 v78, 2, v22, s4
	v_cmp_ne_u32_e64 s4, 9, v91
	v_or_b32_sdwa v72, v72, v74 dst_sel:DWORD dst_unused:UNUSED_PAD src0_sel:WORD_0 src1_sel:DWORD
	v_lshrrev_b32_e32 v74, 8, v19
	v_or_b32_sdwa v76, v78, v76 dst_sel:DWORD dst_unused:UNUSED_PAD src0_sel:BYTE_0 src1_sel:DWORD
	v_cndmask_b32_e64 v79, 2, v79, s4
	v_cmp_ne_u32_e64 s4, 11, v91
	v_cndmask_b32_e32 v23, v72, v23, vcc_lo
	v_lshrrev_b32_e32 v72, 8, v25
	v_lshlrev_b16 v79, 8, v79
	v_cndmask_b32_e64 v80, 2, v80, s4
	v_cmp_ne_u32_e64 s4, 8, v91
	v_lshlrev_b16 v80, 8, v80
	v_cndmask_b32_e64 v82, 2, v21, s4
	v_cmp_ne_u32_e64 s4, 10, v91
	v_or_b32_sdwa v79, v82, v79 dst_sel:DWORD dst_unused:UNUSED_PAD src0_sel:BYTE_0 src1_sel:DWORD
	v_cndmask_b32_e64 v83, 2, v83, s4
	v_cmp_ne_u32_e64 s4, 5, v91
	v_or_b32_sdwa v80, v83, v80 dst_sel:WORD_1 dst_unused:UNUSED_PAD src0_sel:BYTE_0 src1_sel:DWORD
	v_cndmask_b32_e64 v84, 2, v84, s4
	v_cmp_ne_u32_e64 s4, 7, v91
	v_or_b32_sdwa v78, v79, v80 dst_sel:DWORD dst_unused:UNUSED_PAD src0_sel:WORD_0 src1_sel:DWORD
	v_lshlrev_b16 v84, 8, v84
	v_cndmask_b32_e64 v85, 2, v85, s4
	v_cmp_ne_u32_e64 s4, 4, v91
	v_cndmask_b32_e32 v21, v78, v21, vcc_lo
	v_lshlrev_b16 v85, 8, v85
	v_cndmask_b32_e64 v92, 2, v20, s4
	v_cmp_ne_u32_e64 s4, 6, v91
	v_lshrrev_b32_e32 v79, 8, v21
	v_lshrrev_b32_e32 v80, 24, v21
	;; [unrolled: 1-line block ×3, first 2 shown]
	v_or_b32_sdwa v82, v92, v84 dst_sel:DWORD dst_unused:UNUSED_PAD src0_sel:BYTE_0 src1_sel:DWORD
	v_cndmask_b32_e64 v86, 2, v86, s4
	v_cmp_ne_u32_e64 s4, 14, v91
	v_or_b32_sdwa v84, v86, v85 dst_sel:WORD_1 dst_unused:UNUSED_PAD src0_sel:BYTE_0 src1_sel:DWORD
	v_cndmask_b32_e64 v81, 2, v81, s4
	v_cmp_ne_u32_e64 s4, 1, v90
	v_or_b32_sdwa v75, v82, v84 dst_sel:DWORD dst_unused:UNUSED_PAD src0_sel:WORD_0 src1_sel:DWORD
	v_or_b32_sdwa v77, v81, v77 dst_sel:WORD_1 dst_unused:UNUSED_PAD src0_sel:BYTE_0 src1_sel:DWORD
	v_cndmask_b32_e64 v73, 3, v74, s4
	v_cmp_ne_u32_e64 s4, 3, v90
	v_lshrrev_b32_e32 v74, 16, v19
	v_cndmask_b32_e32 v20, v75, v20, vcc_lo
	v_or_b32_sdwa v40, v76, v77 dst_sel:DWORD dst_unused:UNUSED_PAD src0_sel:WORD_0 src1_sel:DWORD
	v_lshlrev_b16 v73, 8, v73
	v_lshrrev_b32_e32 v76, 16, v25
	v_lshrrev_b32_e32 v77, 8, v23
	v_lshrrev_b32_e32 v84, 8, v20
	v_cndmask_b32_e32 v22, v40, v22, vcc_lo
	v_lshrrev_b32_e32 v40, 24, v19
	v_cmp_ne_u32_e32 vcc_lo, 21, v90
	v_lshrrev_b32_e32 v85, 24, v20
	v_lshrrev_b32_e32 v86, 16, v20
	;; [unrolled: 1-line block ×3, first 2 shown]
	v_cndmask_b32_e64 v40, 3, v40, s4
	v_cmp_ne_u32_e64 s4, 0, v90
	v_cndmask_b32_e32 v72, 3, v72, vcc_lo
	v_cmp_ne_u32_e32 vcc_lo, 23, v90
	v_lshlrev_b16 v40, 8, v40
	v_cndmask_b32_e64 v75, 3, v19, s4
	v_cmp_ne_u32_e64 s4, 2, v90
	v_lshlrev_b16 v72, 8, v72
	v_or_b32_sdwa v73, v75, v73 dst_sel:DWORD dst_unused:UNUSED_PAD src0_sel:BYTE_0 src1_sel:DWORD
	v_cndmask_b32_e64 v74, 3, v74, s4
	v_lshrrev_b32_e32 v75, 24, v25
	v_cmp_ne_u32_e64 s4, 18, v90
	v_or_b32_sdwa v40, v74, v40 dst_sel:WORD_1 dst_unused:UNUSED_PAD src0_sel:BYTE_0 src1_sel:DWORD
	v_cndmask_b32_e32 v74, 3, v75, vcc_lo
	v_cmp_ne_u32_e32 vcc_lo, 20, v90
	v_or_b32_sdwa v40, v73, v40 dst_sel:DWORD dst_unused:UNUSED_PAD src0_sel:WORD_0 src1_sel:DWORD
	v_lshlrev_b16 v74, 8, v74
	v_cndmask_b32_e32 v75, 3, v25, vcc_lo
	v_cmp_ne_u32_e32 vcc_lo, 22, v90
	v_or_b32_sdwa v72, v75, v72 dst_sel:DWORD dst_unused:UNUSED_PAD src0_sel:BYTE_0 src1_sel:DWORD
	v_cndmask_b32_e32 v76, 3, v76, vcc_lo
	v_cmp_ne_u32_e32 vcc_lo, 17, v90
	v_lshrrev_b32_e32 v75, 24, v23
	v_or_b32_sdwa v74, v76, v74 dst_sel:WORD_1 dst_unused:UNUSED_PAD src0_sel:BYTE_0 src1_sel:DWORD
	v_cndmask_b32_e32 v73, 3, v77, vcc_lo
	v_cmp_ne_u32_e32 vcc_lo, 16, v90
	v_lshrrev_b32_e32 v77, 24, v22
	v_or_b32_sdwa v72, v72, v74 dst_sel:DWORD dst_unused:UNUSED_PAD src0_sel:WORD_0 src1_sel:DWORD
	v_lshlrev_b16 v73, 8, v73
	v_cndmask_b32_e32 v76, 3, v23, vcc_lo
	v_lshrrev_b32_e32 v74, 16, v23
	v_cmp_ne_u32_e32 vcc_lo, 19, v90
	v_or_b32_sdwa v73, v76, v73 dst_sel:DWORD dst_unused:UNUSED_PAD src0_sel:BYTE_0 src1_sel:DWORD
	v_lshrrev_b32_e32 v76, 8, v22
	v_cndmask_b32_e64 v74, 3, v74, s4
	v_cmp_ne_u32_e64 s4, 13, v90
	v_cndmask_b32_e32 v75, 3, v75, vcc_lo
	v_cmp_eq_u32_e32 vcc_lo, 0, v96
	v_cndmask_b32_e64 v76, 3, v76, s4
	v_cmp_ne_u32_e64 s4, 15, v90
	v_lshlrev_b16 v75, 8, v75
	v_cndmask_b32_e32 v19, v40, v19, vcc_lo
	v_cndmask_b32_e32 v25, v72, v25, vcc_lo
	v_lshlrev_b16 v76, 8, v76
	v_cndmask_b32_e64 v77, 3, v77, s4
	v_cmp_ne_u32_e64 s4, 12, v90
	v_or_b32_sdwa v74, v74, v75 dst_sel:WORD_1 dst_unused:UNUSED_PAD src0_sel:BYTE_0 src1_sel:DWORD
	v_lshlrev_b16 v77, 8, v77
	v_cndmask_b32_e64 v78, 3, v22, s4
	v_cmp_ne_u32_e64 s4, 9, v90
	v_or_b32_sdwa v73, v73, v74 dst_sel:DWORD dst_unused:UNUSED_PAD src0_sel:WORD_0 src1_sel:DWORD
	v_lshrrev_b32_e32 v74, 8, v19
	v_or_b32_sdwa v76, v78, v76 dst_sel:DWORD dst_unused:UNUSED_PAD src0_sel:BYTE_0 src1_sel:DWORD
	v_cndmask_b32_e64 v79, 3, v79, s4
	v_cmp_ne_u32_e64 s4, 11, v90
	v_cndmask_b32_e32 v23, v73, v23, vcc_lo
	v_lshrrev_b32_e32 v73, 8, v25
	v_lshlrev_b16 v79, 8, v79
	v_cndmask_b32_e64 v80, 3, v80, s4
	v_cmp_ne_u32_e64 s4, 8, v90
	v_lshlrev_b16 v80, 8, v80
	v_cndmask_b32_e64 v82, 3, v21, s4
	v_cmp_ne_u32_e64 s4, 10, v90
	v_or_b32_sdwa v79, v82, v79 dst_sel:DWORD dst_unused:UNUSED_PAD src0_sel:BYTE_0 src1_sel:DWORD
	v_cndmask_b32_e64 v83, 3, v83, s4
	v_cmp_ne_u32_e64 s4, 5, v90
	v_or_b32_sdwa v80, v83, v80 dst_sel:WORD_1 dst_unused:UNUSED_PAD src0_sel:BYTE_0 src1_sel:DWORD
	v_cndmask_b32_e64 v84, 3, v84, s4
	v_cmp_ne_u32_e64 s4, 7, v90
	v_or_b32_sdwa v78, v79, v80 dst_sel:DWORD dst_unused:UNUSED_PAD src0_sel:WORD_0 src1_sel:DWORD
	v_lshlrev_b16 v84, 8, v84
	v_cndmask_b32_e64 v85, 3, v85, s4
	v_cmp_ne_u32_e64 s4, 4, v90
	v_cndmask_b32_e32 v21, v78, v21, vcc_lo
	v_lshlrev_b16 v85, 8, v85
	v_cndmask_b32_e64 v91, 3, v20, s4
	v_cmp_ne_u32_e64 s4, 6, v90
	v_lshrrev_b32_e32 v79, 8, v21
	v_lshrrev_b32_e32 v80, 24, v21
	;; [unrolled: 1-line block ×3, first 2 shown]
	v_or_b32_sdwa v82, v91, v84 dst_sel:DWORD dst_unused:UNUSED_PAD src0_sel:BYTE_0 src1_sel:DWORD
	v_cndmask_b32_e64 v86, 3, v86, s4
	v_cmp_ne_u32_e64 s4, 14, v90
	v_or_b32_sdwa v84, v86, v85 dst_sel:WORD_1 dst_unused:UNUSED_PAD src0_sel:BYTE_0 src1_sel:DWORD
	v_cndmask_b32_e64 v81, 3, v81, s4
	v_cmp_ne_u32_e64 s4, 1, v88
	v_or_b32_sdwa v75, v82, v84 dst_sel:DWORD dst_unused:UNUSED_PAD src0_sel:WORD_0 src1_sel:DWORD
	v_or_b32_sdwa v77, v81, v77 dst_sel:WORD_1 dst_unused:UNUSED_PAD src0_sel:BYTE_0 src1_sel:DWORD
	v_cndmask_b32_e64 v72, 4, v74, s4
	v_cmp_ne_u32_e64 s4, 3, v88
	v_lshrrev_b32_e32 v74, 16, v19
	v_cndmask_b32_e32 v20, v75, v20, vcc_lo
	v_or_b32_sdwa v40, v76, v77 dst_sel:DWORD dst_unused:UNUSED_PAD src0_sel:WORD_0 src1_sel:DWORD
	v_lshlrev_b16 v72, 8, v72
	v_lshrrev_b32_e32 v76, 16, v25
	v_lshrrev_b32_e32 v77, 8, v23
	;; [unrolled: 1-line block ×3, first 2 shown]
	v_cndmask_b32_e32 v22, v40, v22, vcc_lo
	v_lshrrev_b32_e32 v40, 24, v19
	v_cmp_ne_u32_e32 vcc_lo, 21, v88
	v_lshrrev_b32_e32 v85, 24, v20
	v_lshrrev_b32_e32 v86, 16, v20
	;; [unrolled: 1-line block ×3, first 2 shown]
	v_cndmask_b32_e64 v40, 4, v40, s4
	v_cmp_ne_u32_e64 s4, 0, v88
	v_cndmask_b32_e32 v73, 4, v73, vcc_lo
	v_cmp_ne_u32_e32 vcc_lo, 23, v88
	v_lshlrev_b16 v40, 8, v40
	v_cndmask_b32_e64 v75, 4, v19, s4
	v_cmp_ne_u32_e64 s4, 2, v88
	v_lshlrev_b16 v73, 8, v73
	v_or_b32_sdwa v72, v75, v72 dst_sel:DWORD dst_unused:UNUSED_PAD src0_sel:BYTE_0 src1_sel:DWORD
	v_cndmask_b32_e64 v74, 4, v74, s4
	v_lshrrev_b32_e32 v75, 24, v25
	v_cmp_ne_u32_e64 s4, 18, v88
	v_or_b32_sdwa v40, v74, v40 dst_sel:WORD_1 dst_unused:UNUSED_PAD src0_sel:BYTE_0 src1_sel:DWORD
	v_cndmask_b32_e32 v74, 4, v75, vcc_lo
	v_cmp_ne_u32_e32 vcc_lo, 20, v88
	v_or_b32_sdwa v40, v72, v40 dst_sel:DWORD dst_unused:UNUSED_PAD src0_sel:WORD_0 src1_sel:DWORD
	v_lshlrev_b16 v74, 8, v74
	v_cndmask_b32_e32 v75, 4, v25, vcc_lo
	v_cmp_ne_u32_e32 vcc_lo, 22, v88
	v_or_b32_sdwa v72, v75, v73 dst_sel:DWORD dst_unused:UNUSED_PAD src0_sel:BYTE_0 src1_sel:DWORD
	v_cndmask_b32_e32 v76, 4, v76, vcc_lo
	v_cmp_ne_u32_e32 vcc_lo, 17, v88
	v_lshrrev_b32_e32 v75, 24, v23
	v_or_b32_sdwa v74, v76, v74 dst_sel:WORD_1 dst_unused:UNUSED_PAD src0_sel:BYTE_0 src1_sel:DWORD
	v_cndmask_b32_e32 v73, 4, v77, vcc_lo
	v_cmp_ne_u32_e32 vcc_lo, 16, v88
	v_lshrrev_b32_e32 v77, 24, v22
	v_or_b32_sdwa v72, v72, v74 dst_sel:DWORD dst_unused:UNUSED_PAD src0_sel:WORD_0 src1_sel:DWORD
	v_lshlrev_b16 v73, 8, v73
	v_cndmask_b32_e32 v76, 4, v23, vcc_lo
	v_lshrrev_b32_e32 v74, 16, v23
	v_cmp_ne_u32_e32 vcc_lo, 19, v88
	v_or_b32_sdwa v73, v76, v73 dst_sel:DWORD dst_unused:UNUSED_PAD src0_sel:BYTE_0 src1_sel:DWORD
	v_lshrrev_b32_e32 v76, 8, v22
	v_cndmask_b32_e64 v74, 4, v74, s4
	v_cmp_ne_u32_e64 s4, 13, v88
	v_cndmask_b32_e32 v75, 4, v75, vcc_lo
	v_cmp_eq_u32_e32 vcc_lo, 0, v89
	v_cndmask_b32_e64 v76, 4, v76, s4
	v_cmp_ne_u32_e64 s4, 15, v88
	v_lshlrev_b16 v75, 8, v75
	v_cndmask_b32_e32 v19, v40, v19, vcc_lo
	v_cndmask_b32_e32 v25, v72, v25, vcc_lo
	v_lshlrev_b16 v76, 8, v76
	v_cndmask_b32_e64 v77, 4, v77, s4
	v_cmp_ne_u32_e64 s4, 12, v88
	v_or_b32_sdwa v74, v74, v75 dst_sel:WORD_1 dst_unused:UNUSED_PAD src0_sel:BYTE_0 src1_sel:DWORD
	v_lshlrev_b16 v77, 8, v77
	v_cndmask_b32_e64 v78, 4, v22, s4
	v_cmp_ne_u32_e64 s4, 9, v88
	v_or_b32_sdwa v73, v73, v74 dst_sel:DWORD dst_unused:UNUSED_PAD src0_sel:WORD_0 src1_sel:DWORD
	v_lshrrev_b32_e32 v74, 8, v19
	v_or_b32_sdwa v76, v78, v76 dst_sel:DWORD dst_unused:UNUSED_PAD src0_sel:BYTE_0 src1_sel:DWORD
	v_cndmask_b32_e64 v79, 4, v79, s4
	v_cmp_ne_u32_e64 s4, 11, v88
	v_cndmask_b32_e32 v23, v73, v23, vcc_lo
	v_lshrrev_b32_e32 v73, 8, v25
	v_lshlrev_b16 v79, 8, v79
	v_cndmask_b32_e64 v80, 4, v80, s4
	v_cmp_ne_u32_e64 s4, 8, v88
	v_lshlrev_b16 v80, 8, v80
	v_cndmask_b32_e64 v82, 4, v21, s4
	v_cmp_ne_u32_e64 s4, 10, v88
	v_or_b32_sdwa v79, v82, v79 dst_sel:DWORD dst_unused:UNUSED_PAD src0_sel:BYTE_0 src1_sel:DWORD
	v_cndmask_b32_e64 v83, 4, v83, s4
	v_cmp_ne_u32_e64 s4, 5, v88
	v_or_b32_sdwa v80, v83, v80 dst_sel:WORD_1 dst_unused:UNUSED_PAD src0_sel:BYTE_0 src1_sel:DWORD
	v_cndmask_b32_e64 v84, 4, v84, s4
	v_cmp_ne_u32_e64 s4, 7, v88
	v_or_b32_sdwa v78, v79, v80 dst_sel:DWORD dst_unused:UNUSED_PAD src0_sel:WORD_0 src1_sel:DWORD
	v_lshlrev_b16 v84, 8, v84
	v_cndmask_b32_e64 v85, 4, v85, s4
	v_cmp_ne_u32_e64 s4, 4, v88
	v_cndmask_b32_e32 v21, v78, v21, vcc_lo
	v_lshlrev_b16 v85, 8, v85
	v_cndmask_b32_e64 v89, 4, v20, s4
	v_cmp_ne_u32_e64 s4, 6, v88
	v_lshrrev_b32_e32 v79, 8, v21
	v_lshrrev_b32_e32 v80, 24, v21
	;; [unrolled: 1-line block ×3, first 2 shown]
	v_or_b32_sdwa v82, v89, v84 dst_sel:DWORD dst_unused:UNUSED_PAD src0_sel:BYTE_0 src1_sel:DWORD
	v_cndmask_b32_e64 v86, 4, v86, s4
	v_cmp_ne_u32_e64 s4, 14, v88
	v_or_b32_sdwa v84, v86, v85 dst_sel:WORD_1 dst_unused:UNUSED_PAD src0_sel:BYTE_0 src1_sel:DWORD
	v_cndmask_b32_e64 v81, 4, v81, s4
	v_cmp_ne_u32_e64 s4, 1, v71
	v_or_b32_sdwa v75, v82, v84 dst_sel:DWORD dst_unused:UNUSED_PAD src0_sel:WORD_0 src1_sel:DWORD
	v_or_b32_sdwa v77, v81, v77 dst_sel:WORD_1 dst_unused:UNUSED_PAD src0_sel:BYTE_0 src1_sel:DWORD
	v_cndmask_b32_e64 v72, 5, v74, s4
	v_cmp_ne_u32_e64 s4, 3, v71
	v_lshrrev_b32_e32 v74, 16, v19
	v_cndmask_b32_e32 v20, v75, v20, vcc_lo
	v_or_b32_sdwa v40, v76, v77 dst_sel:DWORD dst_unused:UNUSED_PAD src0_sel:WORD_0 src1_sel:DWORD
	v_lshlrev_b16 v72, 8, v72
	v_lshrrev_b32_e32 v76, 16, v25
	v_lshrrev_b32_e32 v77, 8, v23
	;; [unrolled: 1-line block ×3, first 2 shown]
	v_cndmask_b32_e32 v22, v40, v22, vcc_lo
	v_lshrrev_b32_e32 v40, 24, v19
	v_cmp_ne_u32_e32 vcc_lo, 21, v71
	v_lshrrev_b32_e32 v85, 24, v20
	v_lshrrev_b32_e32 v86, 16, v20
	;; [unrolled: 1-line block ×3, first 2 shown]
	v_cndmask_b32_e64 v40, 5, v40, s4
	v_cmp_ne_u32_e64 s4, 0, v71
	v_cndmask_b32_e32 v73, 5, v73, vcc_lo
	v_cmp_ne_u32_e32 vcc_lo, 23, v71
	v_lshlrev_b16 v40, 8, v40
	v_cndmask_b32_e64 v75, 5, v19, s4
	v_cmp_ne_u32_e64 s4, 2, v71
	v_lshlrev_b16 v73, 8, v73
	v_or_b32_sdwa v72, v75, v72 dst_sel:DWORD dst_unused:UNUSED_PAD src0_sel:BYTE_0 src1_sel:DWORD
	v_cndmask_b32_e64 v74, 5, v74, s4
	v_lshrrev_b32_e32 v75, 24, v25
	v_cmp_ne_u32_e64 s4, 18, v71
	v_or_b32_sdwa v40, v74, v40 dst_sel:WORD_1 dst_unused:UNUSED_PAD src0_sel:BYTE_0 src1_sel:DWORD
	v_cndmask_b32_e32 v74, 5, v75, vcc_lo
	v_cmp_ne_u32_e32 vcc_lo, 20, v71
	v_or_b32_sdwa v40, v72, v40 dst_sel:DWORD dst_unused:UNUSED_PAD src0_sel:WORD_0 src1_sel:DWORD
	v_lshlrev_b16 v74, 8, v74
	v_cndmask_b32_e32 v75, 5, v25, vcc_lo
	v_cmp_ne_u32_e32 vcc_lo, 22, v71
	v_or_b32_sdwa v72, v75, v73 dst_sel:DWORD dst_unused:UNUSED_PAD src0_sel:BYTE_0 src1_sel:DWORD
	v_cndmask_b32_e32 v76, 5, v76, vcc_lo
	v_cmp_ne_u32_e32 vcc_lo, 17, v71
	v_lshrrev_b32_e32 v75, 24, v23
	v_or_b32_sdwa v74, v76, v74 dst_sel:WORD_1 dst_unused:UNUSED_PAD src0_sel:BYTE_0 src1_sel:DWORD
	v_cndmask_b32_e32 v73, 5, v77, vcc_lo
	v_cmp_ne_u32_e32 vcc_lo, 16, v71
	v_lshrrev_b32_e32 v77, 24, v22
	v_or_b32_sdwa v72, v72, v74 dst_sel:DWORD dst_unused:UNUSED_PAD src0_sel:WORD_0 src1_sel:DWORD
	v_lshlrev_b16 v73, 8, v73
	v_cndmask_b32_e32 v76, 5, v23, vcc_lo
	v_lshrrev_b32_e32 v74, 16, v23
	v_cmp_ne_u32_e32 vcc_lo, 19, v71
	v_or_b32_sdwa v73, v76, v73 dst_sel:DWORD dst_unused:UNUSED_PAD src0_sel:BYTE_0 src1_sel:DWORD
	v_lshrrev_b32_e32 v76, 8, v22
	v_cndmask_b32_e64 v74, 5, v74, s4
	v_cmp_ne_u32_e64 s4, 13, v71
	v_cndmask_b32_e32 v75, 5, v75, vcc_lo
	v_cmp_eq_u32_e32 vcc_lo, 0, v87
	v_cndmask_b32_e64 v76, 5, v76, s4
	v_cmp_ne_u32_e64 s4, 15, v71
	v_lshlrev_b16 v75, 8, v75
	v_cndmask_b32_e32 v19, v40, v19, vcc_lo
	v_cndmask_b32_e32 v25, v72, v25, vcc_lo
	v_lshlrev_b16 v76, 8, v76
	v_cndmask_b32_e64 v77, 5, v77, s4
	v_cmp_ne_u32_e64 s4, 12, v71
	v_or_b32_sdwa v74, v74, v75 dst_sel:WORD_1 dst_unused:UNUSED_PAD src0_sel:BYTE_0 src1_sel:DWORD
	v_lshlrev_b16 v77, 8, v77
	v_cndmask_b32_e64 v78, 5, v22, s4
	v_cmp_ne_u32_e64 s4, 9, v71
	v_or_b32_sdwa v76, v78, v76 dst_sel:DWORD dst_unused:UNUSED_PAD src0_sel:BYTE_0 src1_sel:DWORD
	v_cndmask_b32_e64 v79, 5, v79, s4
	v_cmp_ne_u32_e64 s4, 11, v71
	v_lshlrev_b16 v79, 8, v79
	v_cndmask_b32_e64 v80, 5, v80, s4
	v_cmp_ne_u32_e64 s4, 8, v71
	v_lshlrev_b16 v80, 8, v80
	v_cndmask_b32_e64 v82, 5, v21, s4
	v_cmp_ne_u32_e64 s4, 10, v71
	v_or_b32_sdwa v79, v82, v79 dst_sel:DWORD dst_unused:UNUSED_PAD src0_sel:BYTE_0 src1_sel:DWORD
	v_cndmask_b32_e64 v83, 5, v83, s4
	v_cmp_ne_u32_e64 s4, 5, v71
	v_or_b32_sdwa v80, v83, v80 dst_sel:WORD_1 dst_unused:UNUSED_PAD src0_sel:BYTE_0 src1_sel:DWORD
	v_cndmask_b32_e64 v84, 5, v84, s4
	v_cmp_ne_u32_e64 s4, 7, v71
	v_lshlrev_b16 v84, 8, v84
	v_cndmask_b32_e64 v85, 5, v85, s4
	v_cmp_ne_u32_e64 s4, 4, v71
	v_lshlrev_b16 v85, 8, v85
	v_cndmask_b32_e64 v87, 5, v20, s4
	v_cmp_ne_u32_e64 s4, 6, v71
	v_cndmask_b32_e64 v86, 5, v86, s4
	v_cmp_ne_u32_e64 s4, 14, v71
	v_or_b32_sdwa v82, v86, v85 dst_sel:WORD_1 dst_unused:UNUSED_PAD src0_sel:BYTE_0 src1_sel:DWORD
	v_cndmask_b32_e64 v71, 5, v81, s4
	v_cmp_ne_u32_e64 s4, 1, v68
	v_or_b32_sdwa v81, v87, v84 dst_sel:DWORD dst_unused:UNUSED_PAD src0_sel:BYTE_0 src1_sel:DWORD
	v_or_b32_sdwa v71, v71, v77 dst_sel:WORD_1 dst_unused:UNUSED_PAD src0_sel:BYTE_0 src1_sel:DWORD
	v_or_b32_sdwa v77, v79, v80 dst_sel:DWORD dst_unused:UNUSED_PAD src0_sel:WORD_0 src1_sel:DWORD
	v_or_b32_sdwa v75, v81, v82 dst_sel:DWORD dst_unused:UNUSED_PAD src0_sel:WORD_0 src1_sel:DWORD
	;; [unrolled: 1-line block ×4, first 2 shown]
	v_lshrrev_b32_e32 v73, 8, v19
	v_cndmask_b32_e32 v20, v75, v20, vcc_lo
	v_cndmask_b32_e32 v21, v77, v21, vcc_lo
	;; [unrolled: 1-line block ×3, first 2 shown]
	v_lshrrev_b32_e32 v40, 24, v19
	v_cndmask_b32_e64 v72, 6, v73, s4
	v_cmp_ne_u32_e64 s4, 3, v68
	v_lshrrev_b32_e32 v73, 16, v19
	v_cndmask_b32_e32 v23, v71, v23, vcc_lo
	v_lshrrev_b32_e32 v71, 8, v25
	v_lshlrev_b16 v72, 8, v72
	v_cndmask_b32_e64 v40, 6, v40, s4
	v_cmp_ne_u32_e64 s4, 0, v68
	v_cmp_ne_u32_e32 vcc_lo, 21, v68
	v_lshrrev_b32_e32 v75, 16, v25
	v_lshrrev_b32_e32 v76, 8, v23
	v_lshlrev_b16 v40, 8, v40
	v_cndmask_b32_e64 v74, 6, v19, s4
	v_cmp_ne_u32_e64 s4, 2, v68
	v_cndmask_b32_e32 v71, 6, v71, vcc_lo
	v_cmp_ne_u32_e32 vcc_lo, 23, v68
	v_lshrrev_b32_e32 v77, 8, v21
	v_or_b32_sdwa v72, v74, v72 dst_sel:DWORD dst_unused:UNUSED_PAD src0_sel:BYTE_0 src1_sel:DWORD
	v_cndmask_b32_e64 v73, 6, v73, s4
	v_lshrrev_b32_e32 v74, 24, v25
	v_lshlrev_b16 v71, 8, v71
	v_cmp_ne_u32_e64 s4, 18, v68
	v_lshrrev_b32_e32 v78, 24, v21
	v_or_b32_sdwa v40, v73, v40 dst_sel:WORD_1 dst_unused:UNUSED_PAD src0_sel:BYTE_0 src1_sel:DWORD
	v_cndmask_b32_e32 v73, 6, v74, vcc_lo
	v_cmp_ne_u32_e32 vcc_lo, 20, v68
	v_lshrrev_b32_e32 v81, 16, v21
	v_lshrrev_b32_e32 v82, 8, v20
	v_or_b32_sdwa v40, v72, v40 dst_sel:DWORD dst_unused:UNUSED_PAD src0_sel:WORD_0 src1_sel:DWORD
	v_lshlrev_b16 v73, 8, v73
	v_cndmask_b32_e32 v74, 6, v25, vcc_lo
	v_cmp_ne_u32_e32 vcc_lo, 22, v68
	v_lshrrev_b32_e32 v83, 24, v20
	v_lshrrev_b32_e32 v84, 16, v20
	;; [unrolled: 1-line block ×3, first 2 shown]
	v_or_b32_sdwa v71, v74, v71 dst_sel:DWORD dst_unused:UNUSED_PAD src0_sel:BYTE_0 src1_sel:DWORD
	v_cndmask_b32_e32 v75, 6, v75, vcc_lo
	v_cmp_ne_u32_e32 vcc_lo, 17, v68
	v_lshrrev_b32_e32 v74, 24, v23
	v_or_b32_sdwa v73, v75, v73 dst_sel:WORD_1 dst_unused:UNUSED_PAD src0_sel:BYTE_0 src1_sel:DWORD
	v_cndmask_b32_e32 v72, 6, v76, vcc_lo
	v_cmp_ne_u32_e32 vcc_lo, 16, v68
	v_lshlrev_b16 v72, 8, v72
	v_cndmask_b32_e32 v75, 6, v23, vcc_lo
	v_cmp_ne_u32_e32 vcc_lo, 19, v68
	v_cndmask_b32_e32 v74, 6, v74, vcc_lo
	v_cmp_eq_u32_e32 vcc_lo, 0, v70
	v_or_b32_sdwa v70, v71, v73 dst_sel:DWORD dst_unused:UNUSED_PAD src0_sel:WORD_0 src1_sel:DWORD
	v_or_b32_sdwa v71, v75, v72 dst_sel:DWORD dst_unused:UNUSED_PAD src0_sel:BYTE_0 src1_sel:DWORD
	v_lshrrev_b32_e32 v72, 16, v23
	v_lshlrev_b16 v73, 8, v74
	v_lshrrev_b32_e32 v74, 8, v22
	v_lshrrev_b32_e32 v75, 24, v22
	v_cndmask_b32_e32 v19, v40, v19, vcc_lo
	v_cndmask_b32_e64 v72, 6, v72, s4
	v_cmp_ne_u32_e64 s4, 13, v68
	v_cndmask_b32_e32 v25, v70, v25, vcc_lo
	v_or_b32_sdwa v72, v72, v73 dst_sel:WORD_1 dst_unused:UNUSED_PAD src0_sel:BYTE_0 src1_sel:DWORD
	v_cndmask_b32_e64 v74, 6, v74, s4
	v_cmp_ne_u32_e64 s4, 15, v68
	v_lshlrev_b16 v74, 8, v74
	v_cndmask_b32_e64 v75, 6, v75, s4
	v_cmp_ne_u32_e64 s4, 12, v68
	v_lshlrev_b16 v75, 8, v75
	v_cndmask_b32_e64 v76, 6, v22, s4
	v_cmp_ne_u32_e64 s4, 9, v68
	v_or_b32_sdwa v74, v76, v74 dst_sel:DWORD dst_unused:UNUSED_PAD src0_sel:BYTE_0 src1_sel:DWORD
	v_cndmask_b32_e64 v77, 6, v77, s4
	v_cmp_ne_u32_e64 s4, 11, v68
	v_lshlrev_b16 v77, 8, v77
	v_cndmask_b32_e64 v78, 6, v78, s4
	v_cmp_ne_u32_e64 s4, 8, v68
	v_lshlrev_b16 v78, 8, v78
	v_cndmask_b32_e64 v80, 6, v21, s4
	v_cmp_ne_u32_e64 s4, 10, v68
	v_or_b32_sdwa v77, v80, v77 dst_sel:DWORD dst_unused:UNUSED_PAD src0_sel:BYTE_0 src1_sel:DWORD
	v_cndmask_b32_e64 v81, 6, v81, s4
	v_cmp_ne_u32_e64 s4, 5, v68
	v_or_b32_sdwa v78, v81, v78 dst_sel:WORD_1 dst_unused:UNUSED_PAD src0_sel:BYTE_0 src1_sel:DWORD
	v_cndmask_b32_e64 v82, 6, v82, s4
	v_cmp_ne_u32_e64 s4, 7, v68
	v_lshlrev_b16 v82, 8, v82
	v_cndmask_b32_e64 v83, 6, v83, s4
	v_cmp_ne_u32_e64 s4, 4, v68
	v_lshlrev_b16 v83, 8, v83
	v_cndmask_b32_e64 v85, 6, v20, s4
	v_cmp_ne_u32_e64 s4, 6, v68
	v_cndmask_b32_e64 v84, 6, v84, s4
	v_cmp_ne_u32_e64 s4, 14, v68
	v_or_b32_sdwa v80, v84, v83 dst_sel:WORD_1 dst_unused:UNUSED_PAD src0_sel:BYTE_0 src1_sel:DWORD
	v_cndmask_b32_e64 v68, 6, v79, s4
	v_cmp_ne_u32_e64 s4, 1, v66
	v_or_b32_sdwa v79, v85, v82 dst_sel:DWORD dst_unused:UNUSED_PAD src0_sel:BYTE_0 src1_sel:DWORD
	v_or_b32_sdwa v68, v68, v75 dst_sel:WORD_1 dst_unused:UNUSED_PAD src0_sel:BYTE_0 src1_sel:DWORD
	v_or_b32_sdwa v75, v77, v78 dst_sel:DWORD dst_unused:UNUSED_PAD src0_sel:WORD_0 src1_sel:DWORD
	v_or_b32_sdwa v73, v79, v80 dst_sel:DWORD dst_unused:UNUSED_PAD src0_sel:WORD_0 src1_sel:DWORD
	;; [unrolled: 1-line block ×4, first 2 shown]
	v_lshrrev_b32_e32 v71, 8, v19
	v_cndmask_b32_e32 v20, v73, v20, vcc_lo
	v_cndmask_b32_e32 v21, v75, v21, vcc_lo
	;; [unrolled: 1-line block ×3, first 2 shown]
	v_lshrrev_b32_e32 v40, 24, v19
	v_cndmask_b32_e64 v70, 7, v71, s4
	v_cmp_ne_u32_e64 s4, 3, v66
	v_lshrrev_b32_e32 v71, 16, v19
	v_cndmask_b32_e32 v23, v68, v23, vcc_lo
	v_lshrrev_b32_e32 v68, 8, v25
	v_lshlrev_b16 v70, 8, v70
	v_cndmask_b32_e64 v40, 7, v40, s4
	v_cmp_ne_u32_e64 s4, 0, v66
	v_cmp_ne_u32_e32 vcc_lo, 21, v66
	v_lshrrev_b32_e32 v73, 16, v25
	v_lshrrev_b32_e32 v74, 8, v23
	v_lshlrev_b16 v40, 8, v40
	v_cndmask_b32_e64 v72, 7, v19, s4
	v_cmp_ne_u32_e64 s4, 2, v66
	v_cndmask_b32_e32 v68, 7, v68, vcc_lo
	v_cmp_ne_u32_e32 vcc_lo, 23, v66
	v_lshrrev_b32_e32 v75, 8, v21
	v_or_b32_sdwa v70, v72, v70 dst_sel:DWORD dst_unused:UNUSED_PAD src0_sel:BYTE_0 src1_sel:DWORD
	v_cndmask_b32_e64 v71, 7, v71, s4
	v_lshrrev_b32_e32 v72, 24, v25
	v_lshlrev_b16 v68, 8, v68
	v_cmp_ne_u32_e64 s4, 18, v66
	v_lshrrev_b32_e32 v76, 24, v21
	v_or_b32_sdwa v40, v71, v40 dst_sel:WORD_1 dst_unused:UNUSED_PAD src0_sel:BYTE_0 src1_sel:DWORD
	v_cndmask_b32_e32 v71, 7, v72, vcc_lo
	v_cmp_ne_u32_e32 vcc_lo, 20, v66
	v_lshrrev_b32_e32 v79, 16, v21
	v_lshrrev_b32_e32 v80, 8, v20
	v_or_b32_sdwa v40, v70, v40 dst_sel:DWORD dst_unused:UNUSED_PAD src0_sel:WORD_0 src1_sel:DWORD
	v_lshlrev_b16 v71, 8, v71
	v_cndmask_b32_e32 v72, 7, v25, vcc_lo
	v_cmp_ne_u32_e32 vcc_lo, 22, v66
	v_lshrrev_b32_e32 v81, 24, v20
	v_lshrrev_b32_e32 v82, 16, v20
	;; [unrolled: 1-line block ×3, first 2 shown]
	v_or_b32_sdwa v68, v72, v68 dst_sel:DWORD dst_unused:UNUSED_PAD src0_sel:BYTE_0 src1_sel:DWORD
	v_cndmask_b32_e32 v73, 7, v73, vcc_lo
	v_cmp_ne_u32_e32 vcc_lo, 17, v66
	v_lshrrev_b32_e32 v72, 24, v23
	v_or_b32_sdwa v71, v73, v71 dst_sel:WORD_1 dst_unused:UNUSED_PAD src0_sel:BYTE_0 src1_sel:DWORD
	v_cndmask_b32_e32 v70, 7, v74, vcc_lo
	v_cmp_ne_u32_e32 vcc_lo, 16, v66
	v_lshlrev_b16 v70, 8, v70
	v_cndmask_b32_e32 v73, 7, v23, vcc_lo
	v_cmp_ne_u32_e32 vcc_lo, 19, v66
	v_cndmask_b32_e32 v72, 7, v72, vcc_lo
	v_cmp_eq_u32_e32 vcc_lo, 0, v67
	v_or_b32_sdwa v67, v68, v71 dst_sel:DWORD dst_unused:UNUSED_PAD src0_sel:WORD_0 src1_sel:DWORD
	v_or_b32_sdwa v68, v73, v70 dst_sel:DWORD dst_unused:UNUSED_PAD src0_sel:BYTE_0 src1_sel:DWORD
	v_lshrrev_b32_e32 v70, 16, v23
	v_lshlrev_b16 v71, 8, v72
	v_lshrrev_b32_e32 v72, 8, v22
	v_lshrrev_b32_e32 v73, 24, v22
	v_cndmask_b32_e32 v19, v40, v19, vcc_lo
	v_cndmask_b32_e64 v70, 7, v70, s4
	v_cmp_ne_u32_e64 s4, 13, v66
	v_cndmask_b32_e32 v25, v67, v25, vcc_lo
	v_or_b32_sdwa v70, v70, v71 dst_sel:WORD_1 dst_unused:UNUSED_PAD src0_sel:BYTE_0 src1_sel:DWORD
	v_cndmask_b32_e64 v72, 7, v72, s4
	v_cmp_ne_u32_e64 s4, 15, v66
	v_lshlrev_b16 v72, 8, v72
	v_cndmask_b32_e64 v73, 7, v73, s4
	v_cmp_ne_u32_e64 s4, 12, v66
	v_lshlrev_b16 v73, 8, v73
	v_cndmask_b32_e64 v74, 7, v22, s4
	v_cmp_ne_u32_e64 s4, 9, v66
	v_or_b32_sdwa v72, v74, v72 dst_sel:DWORD dst_unused:UNUSED_PAD src0_sel:BYTE_0 src1_sel:DWORD
	v_cndmask_b32_e64 v75, 7, v75, s4
	v_cmp_ne_u32_e64 s4, 11, v66
	v_lshlrev_b16 v75, 8, v75
	v_cndmask_b32_e64 v76, 7, v76, s4
	v_cmp_ne_u32_e64 s4, 8, v66
	v_lshlrev_b16 v76, 8, v76
	v_cndmask_b32_e64 v78, 7, v21, s4
	v_cmp_ne_u32_e64 s4, 10, v66
	v_or_b32_sdwa v75, v78, v75 dst_sel:DWORD dst_unused:UNUSED_PAD src0_sel:BYTE_0 src1_sel:DWORD
	v_cndmask_b32_e64 v79, 7, v79, s4
	v_cmp_ne_u32_e64 s4, 5, v66
	v_or_b32_sdwa v76, v79, v76 dst_sel:WORD_1 dst_unused:UNUSED_PAD src0_sel:BYTE_0 src1_sel:DWORD
	v_cndmask_b32_e64 v80, 7, v80, s4
	v_cmp_ne_u32_e64 s4, 7, v66
	v_lshlrev_b16 v80, 8, v80
	v_cndmask_b32_e64 v81, 7, v81, s4
	v_cmp_ne_u32_e64 s4, 4, v66
	v_lshlrev_b16 v81, 8, v81
	v_cndmask_b32_e64 v83, 7, v20, s4
	v_cmp_ne_u32_e64 s4, 6, v66
	v_cndmask_b32_e64 v82, 7, v82, s4
	v_cmp_ne_u32_e64 s4, 14, v66
	v_or_b32_sdwa v78, v82, v81 dst_sel:WORD_1 dst_unused:UNUSED_PAD src0_sel:BYTE_0 src1_sel:DWORD
	v_cndmask_b32_e64 v66, 7, v77, s4
	v_cmp_ne_u32_e64 s4, 1, v64
	v_or_b32_sdwa v77, v83, v80 dst_sel:DWORD dst_unused:UNUSED_PAD src0_sel:BYTE_0 src1_sel:DWORD
	v_or_b32_sdwa v66, v66, v73 dst_sel:WORD_1 dst_unused:UNUSED_PAD src0_sel:BYTE_0 src1_sel:DWORD
	v_or_b32_sdwa v73, v75, v76 dst_sel:DWORD dst_unused:UNUSED_PAD src0_sel:WORD_0 src1_sel:DWORD
	v_or_b32_sdwa v71, v77, v78 dst_sel:DWORD dst_unused:UNUSED_PAD src0_sel:WORD_0 src1_sel:DWORD
	;; [unrolled: 1-line block ×4, first 2 shown]
	v_lshrrev_b32_e32 v68, 8, v19
	v_cndmask_b32_e32 v20, v71, v20, vcc_lo
	v_cndmask_b32_e32 v21, v73, v21, vcc_lo
	v_cndmask_b32_e32 v22, v40, v22, vcc_lo
	v_lshrrev_b32_e32 v40, 24, v19
	v_cndmask_b32_e64 v67, 8, v68, s4
	v_cmp_ne_u32_e64 s4, 3, v64
	v_lshrrev_b32_e32 v68, 16, v19
	v_cndmask_b32_e32 v23, v66, v23, vcc_lo
	v_lshrrev_b32_e32 v66, 8, v25
	v_lshlrev_b16 v67, 8, v67
	v_cndmask_b32_e64 v40, 8, v40, s4
	v_cmp_ne_u32_e64 s4, 0, v64
	v_cmp_ne_u32_e32 vcc_lo, 21, v64
	v_lshrrev_b32_e32 v71, 16, v25
	v_lshrrev_b32_e32 v72, 8, v23
	v_lshlrev_b16 v40, 8, v40
	v_cndmask_b32_e64 v70, 8, v19, s4
	v_cmp_ne_u32_e64 s4, 2, v64
	v_cndmask_b32_e32 v66, 8, v66, vcc_lo
	v_cmp_ne_u32_e32 vcc_lo, 23, v64
	v_lshrrev_b32_e32 v73, 8, v21
	v_or_b32_sdwa v67, v70, v67 dst_sel:DWORD dst_unused:UNUSED_PAD src0_sel:BYTE_0 src1_sel:DWORD
	v_cndmask_b32_e64 v68, 8, v68, s4
	v_lshrrev_b32_e32 v70, 24, v25
	v_lshlrev_b16 v66, 8, v66
	v_cmp_ne_u32_e64 s4, 18, v64
	v_lshrrev_b32_e32 v74, 24, v21
	v_or_b32_sdwa v40, v68, v40 dst_sel:WORD_1 dst_unused:UNUSED_PAD src0_sel:BYTE_0 src1_sel:DWORD
	v_cndmask_b32_e32 v68, 8, v70, vcc_lo
	v_cmp_ne_u32_e32 vcc_lo, 20, v64
	v_lshrrev_b32_e32 v77, 16, v21
	v_lshrrev_b32_e32 v78, 8, v20
	v_or_b32_sdwa v40, v67, v40 dst_sel:DWORD dst_unused:UNUSED_PAD src0_sel:WORD_0 src1_sel:DWORD
	v_lshlrev_b16 v68, 8, v68
	v_cndmask_b32_e32 v70, 8, v25, vcc_lo
	v_cmp_ne_u32_e32 vcc_lo, 22, v64
	v_lshrrev_b32_e32 v79, 24, v20
	v_lshrrev_b32_e32 v80, 16, v20
	;; [unrolled: 1-line block ×3, first 2 shown]
	v_or_b32_sdwa v66, v70, v66 dst_sel:DWORD dst_unused:UNUSED_PAD src0_sel:BYTE_0 src1_sel:DWORD
	v_cndmask_b32_e32 v71, 8, v71, vcc_lo
	v_cmp_ne_u32_e32 vcc_lo, 17, v64
	v_lshrrev_b32_e32 v70, 24, v23
	v_or_b32_sdwa v68, v71, v68 dst_sel:WORD_1 dst_unused:UNUSED_PAD src0_sel:BYTE_0 src1_sel:DWORD
	v_cndmask_b32_e32 v67, 8, v72, vcc_lo
	v_cmp_ne_u32_e32 vcc_lo, 16, v64
	v_lshlrev_b16 v67, 8, v67
	v_cndmask_b32_e32 v71, 8, v23, vcc_lo
	v_cmp_ne_u32_e32 vcc_lo, 19, v64
	v_cndmask_b32_e32 v70, 8, v70, vcc_lo
	v_cmp_eq_u32_e32 vcc_lo, 0, v65
	v_or_b32_sdwa v65, v66, v68 dst_sel:DWORD dst_unused:UNUSED_PAD src0_sel:WORD_0 src1_sel:DWORD
	v_or_b32_sdwa v66, v71, v67 dst_sel:DWORD dst_unused:UNUSED_PAD src0_sel:BYTE_0 src1_sel:DWORD
	v_lshrrev_b32_e32 v67, 16, v23
	v_lshlrev_b16 v68, 8, v70
	v_lshrrev_b32_e32 v70, 8, v22
	v_lshrrev_b32_e32 v71, 24, v22
	v_cndmask_b32_e32 v19, v40, v19, vcc_lo
	v_cndmask_b32_e64 v67, 8, v67, s4
	v_cmp_ne_u32_e64 s4, 13, v64
	v_cndmask_b32_e32 v25, v65, v25, vcc_lo
	v_or_b32_sdwa v67, v67, v68 dst_sel:WORD_1 dst_unused:UNUSED_PAD src0_sel:BYTE_0 src1_sel:DWORD
	v_cndmask_b32_e64 v70, 8, v70, s4
	v_cmp_ne_u32_e64 s4, 15, v64
	v_lshlrev_b16 v70, 8, v70
	v_cndmask_b32_e64 v71, 8, v71, s4
	v_cmp_ne_u32_e64 s4, 12, v64
	v_lshlrev_b16 v71, 8, v71
	v_cndmask_b32_e64 v72, 8, v22, s4
	v_cmp_ne_u32_e64 s4, 9, v64
	v_or_b32_sdwa v70, v72, v70 dst_sel:DWORD dst_unused:UNUSED_PAD src0_sel:BYTE_0 src1_sel:DWORD
	v_cndmask_b32_e64 v73, 8, v73, s4
	v_cmp_ne_u32_e64 s4, 11, v64
	v_lshlrev_b16 v73, 8, v73
	v_cndmask_b32_e64 v74, 8, v74, s4
	v_cmp_ne_u32_e64 s4, 8, v64
	v_lshlrev_b16 v74, 8, v74
	v_cndmask_b32_e64 v76, 8, v21, s4
	v_cmp_ne_u32_e64 s4, 10, v64
	v_or_b32_sdwa v73, v76, v73 dst_sel:DWORD dst_unused:UNUSED_PAD src0_sel:BYTE_0 src1_sel:DWORD
	v_cndmask_b32_e64 v77, 8, v77, s4
	v_cmp_ne_u32_e64 s4, 5, v64
	v_or_b32_sdwa v74, v77, v74 dst_sel:WORD_1 dst_unused:UNUSED_PAD src0_sel:BYTE_0 src1_sel:DWORD
	v_cndmask_b32_e64 v78, 8, v78, s4
	v_cmp_ne_u32_e64 s4, 7, v64
	v_lshlrev_b16 v78, 8, v78
	v_cndmask_b32_e64 v79, 8, v79, s4
	v_cmp_ne_u32_e64 s4, 4, v64
	v_lshlrev_b16 v79, 8, v79
	v_cndmask_b32_e64 v81, 8, v20, s4
	v_cmp_ne_u32_e64 s4, 6, v64
	v_cndmask_b32_e64 v80, 8, v80, s4
	v_cmp_ne_u32_e64 s4, 14, v64
	v_or_b32_sdwa v76, v80, v79 dst_sel:WORD_1 dst_unused:UNUSED_PAD src0_sel:BYTE_0 src1_sel:DWORD
	v_cndmask_b32_e64 v64, 8, v75, s4
	v_cmp_ne_u32_e64 s4, 1, v62
	v_or_b32_sdwa v75, v81, v78 dst_sel:DWORD dst_unused:UNUSED_PAD src0_sel:BYTE_0 src1_sel:DWORD
	v_or_b32_sdwa v64, v64, v71 dst_sel:WORD_1 dst_unused:UNUSED_PAD src0_sel:BYTE_0 src1_sel:DWORD
	v_or_b32_sdwa v71, v73, v74 dst_sel:DWORD dst_unused:UNUSED_PAD src0_sel:WORD_0 src1_sel:DWORD
	v_or_b32_sdwa v68, v75, v76 dst_sel:DWORD dst_unused:UNUSED_PAD src0_sel:WORD_0 src1_sel:DWORD
	;; [unrolled: 1-line block ×4, first 2 shown]
	v_lshrrev_b32_e32 v66, 8, v19
	v_cndmask_b32_e32 v20, v68, v20, vcc_lo
	v_cndmask_b32_e32 v21, v71, v21, vcc_lo
	;; [unrolled: 1-line block ×3, first 2 shown]
	v_lshrrev_b32_e32 v40, 24, v19
	v_cndmask_b32_e64 v65, 9, v66, s4
	v_cmp_ne_u32_e64 s4, 3, v62
	v_lshrrev_b32_e32 v66, 16, v19
	v_cndmask_b32_e32 v23, v64, v23, vcc_lo
	v_lshrrev_b32_e32 v64, 8, v25
	v_lshlrev_b16 v65, 8, v65
	v_cndmask_b32_e64 v40, 9, v40, s4
	v_cmp_ne_u32_e64 s4, 0, v62
	v_cmp_ne_u32_e32 vcc_lo, 21, v62
	v_lshrrev_b32_e32 v68, 16, v25
	v_lshrrev_b32_e32 v70, 8, v23
	v_lshlrev_b16 v40, 8, v40
	v_cndmask_b32_e64 v67, 9, v19, s4
	v_cmp_ne_u32_e64 s4, 2, v62
	v_cndmask_b32_e32 v64, 9, v64, vcc_lo
	v_cmp_ne_u32_e32 vcc_lo, 23, v62
	v_lshrrev_b32_e32 v71, 8, v21
	v_or_b32_sdwa v65, v67, v65 dst_sel:DWORD dst_unused:UNUSED_PAD src0_sel:BYTE_0 src1_sel:DWORD
	v_cndmask_b32_e64 v66, 9, v66, s4
	v_lshrrev_b32_e32 v67, 24, v25
	v_lshlrev_b16 v64, 8, v64
	v_cmp_ne_u32_e64 s4, 18, v62
	v_lshrrev_b32_e32 v72, 24, v21
	v_or_b32_sdwa v40, v66, v40 dst_sel:WORD_1 dst_unused:UNUSED_PAD src0_sel:BYTE_0 src1_sel:DWORD
	v_cndmask_b32_e32 v66, 9, v67, vcc_lo
	v_cmp_ne_u32_e32 vcc_lo, 20, v62
	v_lshrrev_b32_e32 v75, 16, v21
	v_lshrrev_b32_e32 v76, 8, v20
	v_or_b32_sdwa v40, v65, v40 dst_sel:DWORD dst_unused:UNUSED_PAD src0_sel:WORD_0 src1_sel:DWORD
	v_lshlrev_b16 v66, 8, v66
	v_cndmask_b32_e32 v67, 9, v25, vcc_lo
	v_cmp_ne_u32_e32 vcc_lo, 22, v62
	v_lshrrev_b32_e32 v77, 24, v20
	v_lshrrev_b32_e32 v78, 16, v20
	;; [unrolled: 1-line block ×3, first 2 shown]
	v_or_b32_sdwa v64, v67, v64 dst_sel:DWORD dst_unused:UNUSED_PAD src0_sel:BYTE_0 src1_sel:DWORD
	v_cndmask_b32_e32 v68, 9, v68, vcc_lo
	v_cmp_ne_u32_e32 vcc_lo, 17, v62
	v_lshrrev_b32_e32 v67, 24, v23
	v_or_b32_sdwa v66, v68, v66 dst_sel:WORD_1 dst_unused:UNUSED_PAD src0_sel:BYTE_0 src1_sel:DWORD
	v_cndmask_b32_e32 v65, 9, v70, vcc_lo
	v_cmp_ne_u32_e32 vcc_lo, 16, v62
	v_lshlrev_b16 v65, 8, v65
	v_cndmask_b32_e32 v68, 9, v23, vcc_lo
	v_cmp_ne_u32_e32 vcc_lo, 19, v62
	v_cndmask_b32_e32 v67, 9, v67, vcc_lo
	v_cmp_eq_u32_e32 vcc_lo, 0, v63
	v_or_b32_sdwa v63, v64, v66 dst_sel:DWORD dst_unused:UNUSED_PAD src0_sel:WORD_0 src1_sel:DWORD
	v_or_b32_sdwa v64, v68, v65 dst_sel:DWORD dst_unused:UNUSED_PAD src0_sel:BYTE_0 src1_sel:DWORD
	v_lshrrev_b32_e32 v65, 16, v23
	v_lshlrev_b16 v66, 8, v67
	v_lshrrev_b32_e32 v67, 8, v22
	v_lshrrev_b32_e32 v68, 24, v22
	v_cndmask_b32_e32 v19, v40, v19, vcc_lo
	v_cndmask_b32_e64 v65, 9, v65, s4
	v_cmp_ne_u32_e64 s4, 13, v62
	v_cndmask_b32_e32 v25, v63, v25, vcc_lo
	v_or_b32_sdwa v65, v65, v66 dst_sel:WORD_1 dst_unused:UNUSED_PAD src0_sel:BYTE_0 src1_sel:DWORD
	v_cndmask_b32_e64 v67, 9, v67, s4
	v_cmp_ne_u32_e64 s4, 15, v62
	v_lshlrev_b16 v67, 8, v67
	v_cndmask_b32_e64 v68, 9, v68, s4
	v_cmp_ne_u32_e64 s4, 12, v62
	v_lshlrev_b16 v68, 8, v68
	v_cndmask_b32_e64 v70, 9, v22, s4
	v_cmp_ne_u32_e64 s4, 9, v62
	v_or_b32_sdwa v67, v70, v67 dst_sel:DWORD dst_unused:UNUSED_PAD src0_sel:BYTE_0 src1_sel:DWORD
	v_cndmask_b32_e64 v71, 9, v71, s4
	v_cmp_ne_u32_e64 s4, 11, v62
	v_lshlrev_b16 v71, 8, v71
	v_cndmask_b32_e64 v72, 9, v72, s4
	v_cmp_ne_u32_e64 s4, 8, v62
	v_lshlrev_b16 v72, 8, v72
	v_cndmask_b32_e64 v74, 9, v21, s4
	v_cmp_ne_u32_e64 s4, 10, v62
	v_or_b32_sdwa v71, v74, v71 dst_sel:DWORD dst_unused:UNUSED_PAD src0_sel:BYTE_0 src1_sel:DWORD
	v_cndmask_b32_e64 v75, 9, v75, s4
	v_cmp_ne_u32_e64 s4, 5, v62
	v_or_b32_sdwa v72, v75, v72 dst_sel:WORD_1 dst_unused:UNUSED_PAD src0_sel:BYTE_0 src1_sel:DWORD
	v_cndmask_b32_e64 v76, 9, v76, s4
	v_cmp_ne_u32_e64 s4, 7, v62
	v_lshlrev_b16 v76, 8, v76
	v_cndmask_b32_e64 v77, 9, v77, s4
	v_cmp_ne_u32_e64 s4, 4, v62
	v_lshlrev_b16 v77, 8, v77
	v_cndmask_b32_e64 v79, 9, v20, s4
	v_cmp_ne_u32_e64 s4, 6, v62
	v_cndmask_b32_e64 v78, 9, v78, s4
	v_cmp_ne_u32_e64 s4, 14, v62
	v_or_b32_sdwa v74, v78, v77 dst_sel:WORD_1 dst_unused:UNUSED_PAD src0_sel:BYTE_0 src1_sel:DWORD
	v_cndmask_b32_e64 v62, 9, v73, s4
	v_cmp_ne_u32_e64 s4, 1, v60
	v_or_b32_sdwa v73, v79, v76 dst_sel:DWORD dst_unused:UNUSED_PAD src0_sel:BYTE_0 src1_sel:DWORD
	v_or_b32_sdwa v62, v62, v68 dst_sel:WORD_1 dst_unused:UNUSED_PAD src0_sel:BYTE_0 src1_sel:DWORD
	v_or_b32_sdwa v68, v71, v72 dst_sel:DWORD dst_unused:UNUSED_PAD src0_sel:WORD_0 src1_sel:DWORD
	v_or_b32_sdwa v66, v73, v74 dst_sel:DWORD dst_unused:UNUSED_PAD src0_sel:WORD_0 src1_sel:DWORD
	;; [unrolled: 1-line block ×4, first 2 shown]
	v_lshrrev_b32_e32 v64, 8, v19
	v_cndmask_b32_e32 v20, v66, v20, vcc_lo
	v_cndmask_b32_e32 v21, v68, v21, vcc_lo
	v_cndmask_b32_e32 v22, v40, v22, vcc_lo
	v_lshrrev_b32_e32 v40, 24, v19
	v_cndmask_b32_e64 v63, 10, v64, s4
	v_cmp_ne_u32_e64 s4, 3, v60
	v_lshrrev_b32_e32 v64, 16, v19
	v_cndmask_b32_e32 v23, v62, v23, vcc_lo
	v_lshrrev_b32_e32 v62, 8, v25
	v_lshlrev_b16 v63, 8, v63
	v_cndmask_b32_e64 v40, 10, v40, s4
	v_cmp_ne_u32_e64 s4, 0, v60
	v_cmp_ne_u32_e32 vcc_lo, 21, v60
	v_lshrrev_b32_e32 v66, 16, v25
	v_lshrrev_b32_e32 v67, 8, v23
	v_lshlrev_b16 v40, 8, v40
	v_cndmask_b32_e64 v65, 10, v19, s4
	v_cmp_ne_u32_e64 s4, 2, v60
	v_cndmask_b32_e32 v62, 10, v62, vcc_lo
	v_cmp_ne_u32_e32 vcc_lo, 23, v60
	v_lshrrev_b32_e32 v68, 8, v21
	v_or_b32_sdwa v63, v65, v63 dst_sel:DWORD dst_unused:UNUSED_PAD src0_sel:BYTE_0 src1_sel:DWORD
	v_cndmask_b32_e64 v64, 10, v64, s4
	v_lshrrev_b32_e32 v65, 24, v25
	v_lshlrev_b16 v62, 8, v62
	v_cmp_ne_u32_e64 s4, 18, v60
	v_lshrrev_b32_e32 v70, 24, v21
	v_or_b32_sdwa v40, v64, v40 dst_sel:WORD_1 dst_unused:UNUSED_PAD src0_sel:BYTE_0 src1_sel:DWORD
	v_cndmask_b32_e32 v64, 10, v65, vcc_lo
	v_cmp_ne_u32_e32 vcc_lo, 20, v60
	v_lshrrev_b32_e32 v73, 16, v21
	v_lshrrev_b32_e32 v74, 8, v20
	v_or_b32_sdwa v40, v63, v40 dst_sel:DWORD dst_unused:UNUSED_PAD src0_sel:WORD_0 src1_sel:DWORD
	v_lshlrev_b16 v64, 8, v64
	v_cndmask_b32_e32 v65, 10, v25, vcc_lo
	v_cmp_ne_u32_e32 vcc_lo, 22, v60
	v_lshrrev_b32_e32 v75, 24, v20
	v_lshrrev_b32_e32 v76, 16, v20
	;; [unrolled: 1-line block ×3, first 2 shown]
	v_or_b32_sdwa v62, v65, v62 dst_sel:DWORD dst_unused:UNUSED_PAD src0_sel:BYTE_0 src1_sel:DWORD
	v_cndmask_b32_e32 v66, 10, v66, vcc_lo
	v_cmp_ne_u32_e32 vcc_lo, 17, v60
	v_lshrrev_b32_e32 v65, 24, v23
	v_or_b32_sdwa v64, v66, v64 dst_sel:WORD_1 dst_unused:UNUSED_PAD src0_sel:BYTE_0 src1_sel:DWORD
	v_cndmask_b32_e32 v63, 10, v67, vcc_lo
	v_cmp_ne_u32_e32 vcc_lo, 16, v60
	v_lshlrev_b16 v63, 8, v63
	v_cndmask_b32_e32 v66, 10, v23, vcc_lo
	v_cmp_ne_u32_e32 vcc_lo, 19, v60
	v_cndmask_b32_e32 v65, 10, v65, vcc_lo
	v_cmp_eq_u32_e32 vcc_lo, 0, v61
	v_or_b32_sdwa v61, v62, v64 dst_sel:DWORD dst_unused:UNUSED_PAD src0_sel:WORD_0 src1_sel:DWORD
	v_or_b32_sdwa v62, v66, v63 dst_sel:DWORD dst_unused:UNUSED_PAD src0_sel:BYTE_0 src1_sel:DWORD
	v_lshrrev_b32_e32 v63, 16, v23
	v_lshlrev_b16 v64, 8, v65
	v_lshrrev_b32_e32 v65, 8, v22
	v_lshrrev_b32_e32 v66, 24, v22
	v_cndmask_b32_e32 v19, v40, v19, vcc_lo
	v_cndmask_b32_e64 v63, 10, v63, s4
	v_cmp_ne_u32_e64 s4, 13, v60
	v_cndmask_b32_e32 v25, v61, v25, vcc_lo
	v_or_b32_sdwa v63, v63, v64 dst_sel:WORD_1 dst_unused:UNUSED_PAD src0_sel:BYTE_0 src1_sel:DWORD
	v_cndmask_b32_e64 v65, 10, v65, s4
	v_cmp_ne_u32_e64 s4, 15, v60
	v_lshlrev_b16 v65, 8, v65
	v_cndmask_b32_e64 v66, 10, v66, s4
	v_cmp_ne_u32_e64 s4, 12, v60
	v_lshlrev_b16 v66, 8, v66
	v_cndmask_b32_e64 v67, 10, v22, s4
	v_cmp_ne_u32_e64 s4, 9, v60
	v_or_b32_sdwa v65, v67, v65 dst_sel:DWORD dst_unused:UNUSED_PAD src0_sel:BYTE_0 src1_sel:DWORD
	v_cndmask_b32_e64 v68, 10, v68, s4
	v_cmp_ne_u32_e64 s4, 11, v60
	v_lshlrev_b16 v68, 8, v68
	v_cndmask_b32_e64 v70, 10, v70, s4
	v_cmp_ne_u32_e64 s4, 8, v60
	v_lshlrev_b16 v70, 8, v70
	v_cndmask_b32_e64 v72, 10, v21, s4
	v_cmp_ne_u32_e64 s4, 10, v60
	v_or_b32_sdwa v68, v72, v68 dst_sel:DWORD dst_unused:UNUSED_PAD src0_sel:BYTE_0 src1_sel:DWORD
	v_cndmask_b32_e64 v73, 10, v73, s4
	v_cmp_ne_u32_e64 s4, 5, v60
	v_or_b32_sdwa v70, v73, v70 dst_sel:WORD_1 dst_unused:UNUSED_PAD src0_sel:BYTE_0 src1_sel:DWORD
	v_cndmask_b32_e64 v74, 10, v74, s4
	v_cmp_ne_u32_e64 s4, 7, v60
	v_lshlrev_b16 v74, 8, v74
	v_cndmask_b32_e64 v75, 10, v75, s4
	v_cmp_ne_u32_e64 s4, 4, v60
	v_lshlrev_b16 v75, 8, v75
	v_cndmask_b32_e64 v77, 10, v20, s4
	v_cmp_ne_u32_e64 s4, 6, v60
	v_cndmask_b32_e64 v76, 10, v76, s4
	v_cmp_ne_u32_e64 s4, 14, v60
	v_or_b32_sdwa v72, v76, v75 dst_sel:WORD_1 dst_unused:UNUSED_PAD src0_sel:BYTE_0 src1_sel:DWORD
	v_cndmask_b32_e64 v60, 10, v71, s4
	v_cmp_ne_u32_e64 s4, 1, v58
	v_or_b32_sdwa v71, v77, v74 dst_sel:DWORD dst_unused:UNUSED_PAD src0_sel:BYTE_0 src1_sel:DWORD
	v_or_b32_sdwa v60, v60, v66 dst_sel:WORD_1 dst_unused:UNUSED_PAD src0_sel:BYTE_0 src1_sel:DWORD
	v_or_b32_sdwa v66, v68, v70 dst_sel:DWORD dst_unused:UNUSED_PAD src0_sel:WORD_0 src1_sel:DWORD
	v_or_b32_sdwa v64, v71, v72 dst_sel:DWORD dst_unused:UNUSED_PAD src0_sel:WORD_0 src1_sel:DWORD
	;; [unrolled: 1-line block ×4, first 2 shown]
	v_lshrrev_b32_e32 v62, 8, v19
	v_cndmask_b32_e32 v20, v64, v20, vcc_lo
	v_cndmask_b32_e32 v21, v66, v21, vcc_lo
	;; [unrolled: 1-line block ×3, first 2 shown]
	v_lshrrev_b32_e32 v40, 24, v19
	v_cndmask_b32_e64 v61, 11, v62, s4
	v_cmp_ne_u32_e64 s4, 3, v58
	v_lshrrev_b32_e32 v62, 16, v19
	v_cndmask_b32_e32 v23, v60, v23, vcc_lo
	v_lshrrev_b32_e32 v60, 8, v25
	v_lshlrev_b16 v61, 8, v61
	v_cndmask_b32_e64 v40, 11, v40, s4
	v_cmp_ne_u32_e64 s4, 0, v58
	v_cmp_ne_u32_e32 vcc_lo, 21, v58
	v_lshrrev_b32_e32 v64, 16, v25
	v_lshrrev_b32_e32 v65, 8, v23
	v_lshlrev_b16 v40, 8, v40
	v_cndmask_b32_e64 v63, 11, v19, s4
	v_cmp_ne_u32_e64 s4, 2, v58
	v_cndmask_b32_e32 v60, 11, v60, vcc_lo
	v_cmp_ne_u32_e32 vcc_lo, 23, v58
	v_lshrrev_b32_e32 v66, 8, v21
	v_or_b32_sdwa v61, v63, v61 dst_sel:DWORD dst_unused:UNUSED_PAD src0_sel:BYTE_0 src1_sel:DWORD
	v_cndmask_b32_e64 v62, 11, v62, s4
	v_lshrrev_b32_e32 v63, 24, v25
	v_lshlrev_b16 v60, 8, v60
	v_cmp_ne_u32_e64 s4, 18, v58
	v_lshrrev_b32_e32 v67, 24, v21
	v_or_b32_sdwa v40, v62, v40 dst_sel:WORD_1 dst_unused:UNUSED_PAD src0_sel:BYTE_0 src1_sel:DWORD
	v_cndmask_b32_e32 v62, 11, v63, vcc_lo
	v_cmp_ne_u32_e32 vcc_lo, 20, v58
	v_lshrrev_b32_e32 v71, 16, v21
	v_lshrrev_b32_e32 v72, 8, v20
	v_or_b32_sdwa v40, v61, v40 dst_sel:DWORD dst_unused:UNUSED_PAD src0_sel:WORD_0 src1_sel:DWORD
	v_lshlrev_b16 v62, 8, v62
	v_cndmask_b32_e32 v63, 11, v25, vcc_lo
	v_cmp_ne_u32_e32 vcc_lo, 22, v58
	v_lshrrev_b32_e32 v73, 24, v20
	v_lshrrev_b32_e32 v74, 16, v20
	;; [unrolled: 1-line block ×3, first 2 shown]
	v_or_b32_sdwa v60, v63, v60 dst_sel:DWORD dst_unused:UNUSED_PAD src0_sel:BYTE_0 src1_sel:DWORD
	v_cndmask_b32_e32 v64, 11, v64, vcc_lo
	v_cmp_ne_u32_e32 vcc_lo, 17, v58
	v_lshrrev_b32_e32 v63, 24, v23
	v_or_b32_sdwa v62, v64, v62 dst_sel:WORD_1 dst_unused:UNUSED_PAD src0_sel:BYTE_0 src1_sel:DWORD
	v_cndmask_b32_e32 v61, 11, v65, vcc_lo
	v_cmp_ne_u32_e32 vcc_lo, 16, v58
	v_lshlrev_b16 v61, 8, v61
	v_cndmask_b32_e32 v64, 11, v23, vcc_lo
	v_cmp_ne_u32_e32 vcc_lo, 19, v58
	v_cndmask_b32_e32 v63, 11, v63, vcc_lo
	v_cmp_eq_u32_e32 vcc_lo, 0, v59
	v_or_b32_sdwa v59, v60, v62 dst_sel:DWORD dst_unused:UNUSED_PAD src0_sel:WORD_0 src1_sel:DWORD
	v_or_b32_sdwa v60, v64, v61 dst_sel:DWORD dst_unused:UNUSED_PAD src0_sel:BYTE_0 src1_sel:DWORD
	v_lshrrev_b32_e32 v61, 16, v23
	v_lshlrev_b16 v62, 8, v63
	v_lshrrev_b32_e32 v63, 8, v22
	v_lshrrev_b32_e32 v64, 24, v22
	v_cndmask_b32_e32 v19, v40, v19, vcc_lo
	v_cndmask_b32_e64 v61, 11, v61, s4
	v_cmp_ne_u32_e64 s4, 13, v58
	v_cndmask_b32_e32 v25, v59, v25, vcc_lo
	v_or_b32_sdwa v61, v61, v62 dst_sel:WORD_1 dst_unused:UNUSED_PAD src0_sel:BYTE_0 src1_sel:DWORD
	v_cndmask_b32_e64 v63, 11, v63, s4
	v_cmp_ne_u32_e64 s4, 15, v58
	v_lshlrev_b16 v63, 8, v63
	v_cndmask_b32_e64 v64, 11, v64, s4
	v_cmp_ne_u32_e64 s4, 12, v58
	v_lshlrev_b16 v64, 8, v64
	v_cndmask_b32_e64 v65, 11, v22, s4
	v_cmp_ne_u32_e64 s4, 9, v58
	v_or_b32_sdwa v63, v65, v63 dst_sel:DWORD dst_unused:UNUSED_PAD src0_sel:BYTE_0 src1_sel:DWORD
	v_cndmask_b32_e64 v66, 11, v66, s4
	v_cmp_ne_u32_e64 s4, 11, v58
	v_lshlrev_b16 v66, 8, v66
	v_cndmask_b32_e64 v67, 11, v67, s4
	v_cmp_ne_u32_e64 s4, 8, v58
	v_lshlrev_b16 v67, 8, v67
	v_cndmask_b32_e64 v70, 11, v21, s4
	v_cmp_ne_u32_e64 s4, 10, v58
	v_or_b32_sdwa v66, v70, v66 dst_sel:DWORD dst_unused:UNUSED_PAD src0_sel:BYTE_0 src1_sel:DWORD
	v_cndmask_b32_e64 v71, 11, v71, s4
	v_cmp_ne_u32_e64 s4, 5, v58
	v_or_b32_sdwa v67, v71, v67 dst_sel:WORD_1 dst_unused:UNUSED_PAD src0_sel:BYTE_0 src1_sel:DWORD
	v_cndmask_b32_e64 v72, 11, v72, s4
	v_cmp_ne_u32_e64 s4, 7, v58
	v_lshlrev_b16 v72, 8, v72
	v_cndmask_b32_e64 v73, 11, v73, s4
	v_cmp_ne_u32_e64 s4, 4, v58
	v_lshlrev_b16 v73, 8, v73
	v_cndmask_b32_e64 v75, 11, v20, s4
	v_cmp_ne_u32_e64 s4, 6, v58
	v_cndmask_b32_e64 v74, 11, v74, s4
	v_cmp_ne_u32_e64 s4, 14, v58
	v_or_b32_sdwa v70, v74, v73 dst_sel:WORD_1 dst_unused:UNUSED_PAD src0_sel:BYTE_0 src1_sel:DWORD
	v_cndmask_b32_e64 v58, 11, v68, s4
	v_cmp_ne_u32_e64 s4, 1, v56
	v_or_b32_sdwa v68, v75, v72 dst_sel:DWORD dst_unused:UNUSED_PAD src0_sel:BYTE_0 src1_sel:DWORD
	v_mov_b32_e32 v74, 3
	v_or_b32_sdwa v58, v58, v64 dst_sel:WORD_1 dst_unused:UNUSED_PAD src0_sel:BYTE_0 src1_sel:DWORD
	v_or_b32_sdwa v64, v66, v67 dst_sel:DWORD dst_unused:UNUSED_PAD src0_sel:WORD_0 src1_sel:DWORD
	v_or_b32_sdwa v62, v68, v70 dst_sel:DWORD dst_unused:UNUSED_PAD src0_sel:WORD_0 src1_sel:DWORD
	;; [unrolled: 1-line block ×4, first 2 shown]
	v_lshrrev_b32_e32 v60, 8, v19
	v_cndmask_b32_e32 v20, v62, v20, vcc_lo
	v_cndmask_b32_e32 v21, v64, v21, vcc_lo
	;; [unrolled: 1-line block ×3, first 2 shown]
	v_lshrrev_b32_e32 v40, 24, v19
	v_cndmask_b32_e64 v59, 12, v60, s4
	v_cmp_ne_u32_e64 s4, 3, v56
	v_lshrrev_b32_e32 v60, 16, v19
	v_cndmask_b32_e32 v23, v58, v23, vcc_lo
	v_lshrrev_b32_e32 v58, 8, v25
	v_lshlrev_b16 v59, 8, v59
	v_cndmask_b32_e64 v40, 12, v40, s4
	v_cmp_ne_u32_e64 s4, 0, v56
	v_cmp_ne_u32_e32 vcc_lo, 21, v56
	v_lshrrev_b32_e32 v62, 16, v25
	v_lshrrev_b32_e32 v63, 8, v23
	v_lshlrev_b16 v40, 8, v40
	v_cndmask_b32_e64 v61, 12, v19, s4
	v_cmp_ne_u32_e64 s4, 2, v56
	v_cndmask_b32_e32 v58, 12, v58, vcc_lo
	v_cmp_ne_u32_e32 vcc_lo, 23, v56
	v_lshrrev_b32_e32 v64, 8, v21
	v_or_b32_sdwa v59, v61, v59 dst_sel:DWORD dst_unused:UNUSED_PAD src0_sel:BYTE_0 src1_sel:DWORD
	v_cndmask_b32_e64 v60, 12, v60, s4
	v_lshrrev_b32_e32 v61, 24, v25
	v_lshlrev_b16 v58, 8, v58
	v_cmp_ne_u32_e64 s4, 18, v56
	v_lshrrev_b32_e32 v65, 24, v21
	v_or_b32_sdwa v40, v60, v40 dst_sel:WORD_1 dst_unused:UNUSED_PAD src0_sel:BYTE_0 src1_sel:DWORD
	v_cndmask_b32_e32 v60, 12, v61, vcc_lo
	v_cmp_ne_u32_e32 vcc_lo, 20, v56
	v_lshrrev_b32_e32 v68, 16, v21
	v_lshrrev_b32_e32 v70, 8, v20
	v_or_b32_sdwa v40, v59, v40 dst_sel:DWORD dst_unused:UNUSED_PAD src0_sel:WORD_0 src1_sel:DWORD
	v_lshlrev_b16 v60, 8, v60
	v_cndmask_b32_e32 v61, 12, v25, vcc_lo
	v_cmp_ne_u32_e32 vcc_lo, 22, v56
	v_lshrrev_b32_e32 v71, 24, v20
	v_lshrrev_b32_e32 v72, 16, v20
	;; [unrolled: 1-line block ×3, first 2 shown]
	v_or_b32_sdwa v58, v61, v58 dst_sel:DWORD dst_unused:UNUSED_PAD src0_sel:BYTE_0 src1_sel:DWORD
	v_cndmask_b32_e32 v62, 12, v62, vcc_lo
	v_cmp_ne_u32_e32 vcc_lo, 17, v56
	v_lshrrev_b32_e32 v61, 24, v23
	v_or_b32_sdwa v60, v62, v60 dst_sel:WORD_1 dst_unused:UNUSED_PAD src0_sel:BYTE_0 src1_sel:DWORD
	v_cndmask_b32_e32 v59, 12, v63, vcc_lo
	v_cmp_ne_u32_e32 vcc_lo, 16, v56
	v_lshlrev_b16 v59, 8, v59
	v_cndmask_b32_e32 v62, 12, v23, vcc_lo
	v_cmp_ne_u32_e32 vcc_lo, 19, v56
	v_cndmask_b32_e32 v61, 12, v61, vcc_lo
	v_cmp_eq_u32_e32 vcc_lo, 0, v57
	v_or_b32_sdwa v57, v58, v60 dst_sel:DWORD dst_unused:UNUSED_PAD src0_sel:WORD_0 src1_sel:DWORD
	v_or_b32_sdwa v58, v62, v59 dst_sel:DWORD dst_unused:UNUSED_PAD src0_sel:BYTE_0 src1_sel:DWORD
	v_lshrrev_b32_e32 v59, 16, v23
	v_lshlrev_b16 v60, 8, v61
	v_lshrrev_b32_e32 v61, 8, v22
	v_lshrrev_b32_e32 v62, 24, v22
	v_cndmask_b32_e32 v19, v40, v19, vcc_lo
	v_cndmask_b32_e64 v59, 12, v59, s4
	v_cmp_ne_u32_e64 s4, 13, v56
	v_cndmask_b32_e32 v25, v57, v25, vcc_lo
	v_or_b32_sdwa v59, v59, v60 dst_sel:WORD_1 dst_unused:UNUSED_PAD src0_sel:BYTE_0 src1_sel:DWORD
	v_cndmask_b32_e64 v61, 12, v61, s4
	v_cmp_ne_u32_e64 s4, 15, v56
	v_lshlrev_b16 v61, 8, v61
	v_cndmask_b32_e64 v62, 12, v62, s4
	v_cmp_ne_u32_e64 s4, 12, v56
	v_lshlrev_b16 v62, 8, v62
	v_cndmask_b32_e64 v63, 12, v22, s4
	v_cmp_ne_u32_e64 s4, 9, v56
	v_or_b32_sdwa v61, v63, v61 dst_sel:DWORD dst_unused:UNUSED_PAD src0_sel:BYTE_0 src1_sel:DWORD
	v_cndmask_b32_e64 v64, 12, v64, s4
	v_cmp_ne_u32_e64 s4, 11, v56
	v_lshlrev_b16 v64, 8, v64
	v_cndmask_b32_e64 v65, 12, v65, s4
	v_cmp_ne_u32_e64 s4, 8, v56
	v_lshlrev_b16 v65, 8, v65
	v_cndmask_b32_e64 v67, 12, v21, s4
	v_cmp_ne_u32_e64 s4, 10, v56
	v_or_b32_sdwa v64, v67, v64 dst_sel:DWORD dst_unused:UNUSED_PAD src0_sel:BYTE_0 src1_sel:DWORD
	v_cndmask_b32_e64 v68, 12, v68, s4
	v_cmp_ne_u32_e64 s4, 5, v56
	v_or_b32_sdwa v65, v68, v65 dst_sel:WORD_1 dst_unused:UNUSED_PAD src0_sel:BYTE_0 src1_sel:DWORD
	v_cndmask_b32_e64 v70, 12, v70, s4
	v_cmp_ne_u32_e64 s4, 7, v56
	v_lshlrev_b16 v70, 8, v70
	v_cndmask_b32_e64 v71, 12, v71, s4
	v_cmp_ne_u32_e64 s4, 4, v56
	v_lshlrev_b16 v71, 8, v71
	v_cndmask_b32_e64 v73, 12, v20, s4
	v_cmp_ne_u32_e64 s4, 6, v56
	v_cndmask_b32_e64 v72, 12, v72, s4
	v_cmp_ne_u32_e64 s4, 14, v56
	v_or_b32_sdwa v67, v72, v71 dst_sel:WORD_1 dst_unused:UNUSED_PAD src0_sel:BYTE_0 src1_sel:DWORD
	v_cndmask_b32_e64 v56, 12, v66, s4
	v_cmp_ne_u32_e64 s4, 1, v54
	v_or_b32_sdwa v66, v73, v70 dst_sel:DWORD dst_unused:UNUSED_PAD src0_sel:BYTE_0 src1_sel:DWORD
	v_or_b32_sdwa v56, v56, v62 dst_sel:WORD_1 dst_unused:UNUSED_PAD src0_sel:BYTE_0 src1_sel:DWORD
	v_or_b32_sdwa v62, v64, v65 dst_sel:DWORD dst_unused:UNUSED_PAD src0_sel:WORD_0 src1_sel:DWORD
	v_or_b32_sdwa v60, v66, v67 dst_sel:DWORD dst_unused:UNUSED_PAD src0_sel:WORD_0 src1_sel:DWORD
	;; [unrolled: 1-line block ×4, first 2 shown]
	v_lshrrev_b32_e32 v58, 8, v19
	v_cndmask_b32_e32 v20, v60, v20, vcc_lo
	v_cndmask_b32_e32 v21, v62, v21, vcc_lo
	;; [unrolled: 1-line block ×3, first 2 shown]
	v_lshrrev_b32_e32 v40, 24, v19
	v_cndmask_b32_e64 v57, 13, v58, s4
	v_cmp_ne_u32_e64 s4, 3, v54
	v_lshrrev_b32_e32 v58, 16, v19
	v_cndmask_b32_e32 v23, v56, v23, vcc_lo
	v_lshrrev_b32_e32 v56, 8, v25
	v_lshlrev_b16 v57, 8, v57
	v_cndmask_b32_e64 v40, 13, v40, s4
	v_cmp_ne_u32_e64 s4, 0, v54
	v_cmp_ne_u32_e32 vcc_lo, 21, v54
	v_lshrrev_b32_e32 v60, 16, v25
	v_lshrrev_b32_e32 v61, 8, v23
	v_lshlrev_b16 v40, 8, v40
	v_cndmask_b32_e64 v59, 13, v19, s4
	v_cmp_ne_u32_e64 s4, 2, v54
	v_cndmask_b32_e32 v56, 13, v56, vcc_lo
	v_cmp_ne_u32_e32 vcc_lo, 23, v54
	v_lshrrev_b32_e32 v62, 8, v21
	v_or_b32_sdwa v57, v59, v57 dst_sel:DWORD dst_unused:UNUSED_PAD src0_sel:BYTE_0 src1_sel:DWORD
	v_cndmask_b32_e64 v58, 13, v58, s4
	v_lshrrev_b32_e32 v59, 24, v25
	v_lshlrev_b16 v56, 8, v56
	v_cmp_ne_u32_e64 s4, 18, v54
	v_lshrrev_b32_e32 v63, 24, v21
	v_or_b32_sdwa v40, v58, v40 dst_sel:WORD_1 dst_unused:UNUSED_PAD src0_sel:BYTE_0 src1_sel:DWORD
	v_cndmask_b32_e32 v58, 13, v59, vcc_lo
	v_cmp_ne_u32_e32 vcc_lo, 20, v54
	v_lshrrev_b32_e32 v66, 16, v21
	v_lshrrev_b32_e32 v67, 8, v20
	v_or_b32_sdwa v40, v57, v40 dst_sel:DWORD dst_unused:UNUSED_PAD src0_sel:WORD_0 src1_sel:DWORD
	v_lshlrev_b16 v58, 8, v58
	v_cndmask_b32_e32 v59, 13, v25, vcc_lo
	v_cmp_ne_u32_e32 vcc_lo, 22, v54
	v_lshrrev_b32_e32 v68, 24, v20
	v_lshrrev_b32_e32 v70, 16, v20
	;; [unrolled: 1-line block ×3, first 2 shown]
	v_or_b32_sdwa v56, v59, v56 dst_sel:DWORD dst_unused:UNUSED_PAD src0_sel:BYTE_0 src1_sel:DWORD
	v_cndmask_b32_e32 v60, 13, v60, vcc_lo
	v_cmp_ne_u32_e32 vcc_lo, 17, v54
	v_lshrrev_b32_e32 v59, 24, v23
	v_or_b32_sdwa v58, v60, v58 dst_sel:WORD_1 dst_unused:UNUSED_PAD src0_sel:BYTE_0 src1_sel:DWORD
	v_cndmask_b32_e32 v57, 13, v61, vcc_lo
	v_cmp_ne_u32_e32 vcc_lo, 16, v54
	v_lshlrev_b16 v57, 8, v57
	v_cndmask_b32_e32 v60, 13, v23, vcc_lo
	v_cmp_ne_u32_e32 vcc_lo, 19, v54
	v_cndmask_b32_e32 v59, 13, v59, vcc_lo
	v_cmp_eq_u32_e32 vcc_lo, 0, v55
	v_or_b32_sdwa v55, v56, v58 dst_sel:DWORD dst_unused:UNUSED_PAD src0_sel:WORD_0 src1_sel:DWORD
	v_or_b32_sdwa v56, v60, v57 dst_sel:DWORD dst_unused:UNUSED_PAD src0_sel:BYTE_0 src1_sel:DWORD
	v_lshrrev_b32_e32 v57, 16, v23
	v_lshlrev_b16 v58, 8, v59
	v_lshrrev_b32_e32 v59, 8, v22
	v_lshrrev_b32_e32 v60, 24, v22
	v_cndmask_b32_e32 v19, v40, v19, vcc_lo
	v_cndmask_b32_e64 v57, 13, v57, s4
	v_cmp_ne_u32_e64 s4, 13, v54
	v_cndmask_b32_e32 v25, v55, v25, vcc_lo
	v_or_b32_sdwa v57, v57, v58 dst_sel:WORD_1 dst_unused:UNUSED_PAD src0_sel:BYTE_0 src1_sel:DWORD
	v_cndmask_b32_e64 v59, 13, v59, s4
	v_cmp_ne_u32_e64 s4, 15, v54
	v_lshlrev_b16 v59, 8, v59
	v_cndmask_b32_e64 v60, 13, v60, s4
	v_cmp_ne_u32_e64 s4, 12, v54
	v_lshlrev_b16 v60, 8, v60
	v_cndmask_b32_e64 v61, 13, v22, s4
	v_cmp_ne_u32_e64 s4, 9, v54
	v_or_b32_sdwa v59, v61, v59 dst_sel:DWORD dst_unused:UNUSED_PAD src0_sel:BYTE_0 src1_sel:DWORD
	v_cndmask_b32_e64 v62, 13, v62, s4
	v_cmp_ne_u32_e64 s4, 11, v54
	v_lshlrev_b16 v62, 8, v62
	v_cndmask_b32_e64 v63, 13, v63, s4
	v_cmp_ne_u32_e64 s4, 8, v54
	v_lshlrev_b16 v63, 8, v63
	v_cndmask_b32_e64 v65, 13, v21, s4
	v_cmp_ne_u32_e64 s4, 10, v54
	v_or_b32_sdwa v62, v65, v62 dst_sel:DWORD dst_unused:UNUSED_PAD src0_sel:BYTE_0 src1_sel:DWORD
	v_cndmask_b32_e64 v66, 13, v66, s4
	v_cmp_ne_u32_e64 s4, 5, v54
	v_or_b32_sdwa v63, v66, v63 dst_sel:WORD_1 dst_unused:UNUSED_PAD src0_sel:BYTE_0 src1_sel:DWORD
	v_cndmask_b32_e64 v67, 13, v67, s4
	v_cmp_ne_u32_e64 s4, 7, v54
	v_lshlrev_b16 v67, 8, v67
	v_cndmask_b32_e64 v68, 13, v68, s4
	v_cmp_ne_u32_e64 s4, 4, v54
	v_lshlrev_b16 v68, 8, v68
	v_cndmask_b32_e64 v71, 13, v20, s4
	v_cmp_ne_u32_e64 s4, 6, v54
	v_cndmask_b32_e64 v70, 13, v70, s4
	v_cmp_ne_u32_e64 s4, 14, v54
	v_or_b32_sdwa v65, v70, v68 dst_sel:WORD_1 dst_unused:UNUSED_PAD src0_sel:BYTE_0 src1_sel:DWORD
	v_cndmask_b32_e64 v54, 13, v64, s4
	v_cmp_ne_u32_e64 s4, 1, v52
	v_or_b32_sdwa v64, v71, v67 dst_sel:DWORD dst_unused:UNUSED_PAD src0_sel:BYTE_0 src1_sel:DWORD
	v_or_b32_sdwa v54, v54, v60 dst_sel:WORD_1 dst_unused:UNUSED_PAD src0_sel:BYTE_0 src1_sel:DWORD
	v_or_b32_sdwa v60, v62, v63 dst_sel:DWORD dst_unused:UNUSED_PAD src0_sel:WORD_0 src1_sel:DWORD
	v_or_b32_sdwa v58, v64, v65 dst_sel:DWORD dst_unused:UNUSED_PAD src0_sel:WORD_0 src1_sel:DWORD
	;; [unrolled: 1-line block ×4, first 2 shown]
	v_lshrrev_b32_e32 v56, 8, v19
	v_cndmask_b32_e32 v20, v58, v20, vcc_lo
	v_cndmask_b32_e32 v21, v60, v21, vcc_lo
	;; [unrolled: 1-line block ×3, first 2 shown]
	v_lshrrev_b32_e32 v40, 24, v19
	v_cndmask_b32_e64 v55, 14, v56, s4
	v_cmp_ne_u32_e64 s4, 3, v52
	v_lshrrev_b32_e32 v56, 16, v19
	v_cndmask_b32_e32 v23, v54, v23, vcc_lo
	v_lshrrev_b32_e32 v54, 8, v25
	v_lshlrev_b16 v55, 8, v55
	v_cndmask_b32_e64 v40, 14, v40, s4
	v_cmp_ne_u32_e64 s4, 0, v52
	v_cmp_ne_u32_e32 vcc_lo, 21, v52
	v_lshrrev_b32_e32 v58, 16, v25
	v_lshrrev_b32_e32 v59, 8, v23
	v_lshlrev_b16 v40, 8, v40
	v_cndmask_b32_e64 v57, 14, v19, s4
	v_cmp_ne_u32_e64 s4, 2, v52
	v_cndmask_b32_e32 v54, 14, v54, vcc_lo
	v_cmp_ne_u32_e32 vcc_lo, 23, v52
	v_lshrrev_b32_e32 v60, 8, v21
	v_or_b32_sdwa v55, v57, v55 dst_sel:DWORD dst_unused:UNUSED_PAD src0_sel:BYTE_0 src1_sel:DWORD
	v_cndmask_b32_e64 v56, 14, v56, s4
	v_lshrrev_b32_e32 v57, 24, v25
	v_lshlrev_b16 v54, 8, v54
	v_cmp_ne_u32_e64 s4, 18, v52
	v_lshrrev_b32_e32 v61, 24, v21
	v_or_b32_sdwa v40, v56, v40 dst_sel:WORD_1 dst_unused:UNUSED_PAD src0_sel:BYTE_0 src1_sel:DWORD
	v_cndmask_b32_e32 v56, 14, v57, vcc_lo
	v_cmp_ne_u32_e32 vcc_lo, 20, v52
	v_lshrrev_b32_e32 v64, 16, v21
	v_lshrrev_b32_e32 v65, 8, v20
	v_or_b32_sdwa v40, v55, v40 dst_sel:DWORD dst_unused:UNUSED_PAD src0_sel:WORD_0 src1_sel:DWORD
	v_lshlrev_b16 v56, 8, v56
	v_cndmask_b32_e32 v57, 14, v25, vcc_lo
	v_cmp_ne_u32_e32 vcc_lo, 22, v52
	v_lshrrev_b32_e32 v66, 24, v20
	v_lshrrev_b32_e32 v67, 16, v20
	;; [unrolled: 1-line block ×3, first 2 shown]
	v_or_b32_sdwa v54, v57, v54 dst_sel:DWORD dst_unused:UNUSED_PAD src0_sel:BYTE_0 src1_sel:DWORD
	v_cndmask_b32_e32 v58, 14, v58, vcc_lo
	v_cmp_ne_u32_e32 vcc_lo, 17, v52
	v_lshrrev_b32_e32 v57, 24, v23
	v_or_b32_sdwa v56, v58, v56 dst_sel:WORD_1 dst_unused:UNUSED_PAD src0_sel:BYTE_0 src1_sel:DWORD
	v_cndmask_b32_e32 v55, 14, v59, vcc_lo
	v_cmp_ne_u32_e32 vcc_lo, 16, v52
	v_lshlrev_b16 v55, 8, v55
	v_cndmask_b32_e32 v58, 14, v23, vcc_lo
	v_cmp_ne_u32_e32 vcc_lo, 19, v52
	v_cndmask_b32_e32 v57, 14, v57, vcc_lo
	v_cmp_eq_u32_e32 vcc_lo, 0, v53
	v_or_b32_sdwa v53, v54, v56 dst_sel:DWORD dst_unused:UNUSED_PAD src0_sel:WORD_0 src1_sel:DWORD
	v_or_b32_sdwa v54, v58, v55 dst_sel:DWORD dst_unused:UNUSED_PAD src0_sel:BYTE_0 src1_sel:DWORD
	v_lshrrev_b32_e32 v55, 16, v23
	v_lshlrev_b16 v56, 8, v57
	v_lshrrev_b32_e32 v57, 8, v22
	v_lshrrev_b32_e32 v58, 24, v22
	v_cndmask_b32_e32 v19, v40, v19, vcc_lo
	v_cndmask_b32_e64 v55, 14, v55, s4
	v_cmp_ne_u32_e64 s4, 13, v52
	v_cndmask_b32_e32 v25, v53, v25, vcc_lo
	v_or_b32_sdwa v55, v55, v56 dst_sel:WORD_1 dst_unused:UNUSED_PAD src0_sel:BYTE_0 src1_sel:DWORD
	v_cndmask_b32_e64 v57, 14, v57, s4
	v_cmp_ne_u32_e64 s4, 15, v52
	v_lshlrev_b16 v57, 8, v57
	v_cndmask_b32_e64 v58, 14, v58, s4
	v_cmp_ne_u32_e64 s4, 12, v52
	v_lshlrev_b16 v58, 8, v58
	v_cndmask_b32_e64 v59, 14, v22, s4
	v_cmp_ne_u32_e64 s4, 9, v52
	v_or_b32_sdwa v57, v59, v57 dst_sel:DWORD dst_unused:UNUSED_PAD src0_sel:BYTE_0 src1_sel:DWORD
	v_cndmask_b32_e64 v60, 14, v60, s4
	v_cmp_ne_u32_e64 s4, 11, v52
	v_lshlrev_b16 v60, 8, v60
	v_cndmask_b32_e64 v61, 14, v61, s4
	v_cmp_ne_u32_e64 s4, 8, v52
	v_lshlrev_b16 v61, 8, v61
	v_cndmask_b32_e64 v63, 14, v21, s4
	v_cmp_ne_u32_e64 s4, 10, v52
	v_or_b32_sdwa v60, v63, v60 dst_sel:DWORD dst_unused:UNUSED_PAD src0_sel:BYTE_0 src1_sel:DWORD
	v_cndmask_b32_e64 v64, 14, v64, s4
	v_cmp_ne_u32_e64 s4, 5, v52
	v_or_b32_sdwa v61, v64, v61 dst_sel:WORD_1 dst_unused:UNUSED_PAD src0_sel:BYTE_0 src1_sel:DWORD
	v_cndmask_b32_e64 v65, 14, v65, s4
	v_cmp_ne_u32_e64 s4, 7, v52
	v_lshlrev_b16 v65, 8, v65
	v_cndmask_b32_e64 v66, 14, v66, s4
	v_cmp_ne_u32_e64 s4, 4, v52
	v_lshlrev_b16 v66, 8, v66
	v_cndmask_b32_e64 v68, 14, v20, s4
	v_cmp_ne_u32_e64 s4, 6, v52
	v_cndmask_b32_e64 v67, 14, v67, s4
	v_cmp_ne_u32_e64 s4, 14, v52
	v_or_b32_sdwa v63, v67, v66 dst_sel:WORD_1 dst_unused:UNUSED_PAD src0_sel:BYTE_0 src1_sel:DWORD
	v_cndmask_b32_e64 v52, 14, v62, s4
	v_cmp_ne_u32_e64 s4, 1, v50
	v_or_b32_sdwa v62, v68, v65 dst_sel:DWORD dst_unused:UNUSED_PAD src0_sel:BYTE_0 src1_sel:DWORD
	v_or_b32_sdwa v52, v52, v58 dst_sel:WORD_1 dst_unused:UNUSED_PAD src0_sel:BYTE_0 src1_sel:DWORD
	v_or_b32_sdwa v58, v60, v61 dst_sel:DWORD dst_unused:UNUSED_PAD src0_sel:WORD_0 src1_sel:DWORD
	v_or_b32_sdwa v56, v62, v63 dst_sel:DWORD dst_unused:UNUSED_PAD src0_sel:WORD_0 src1_sel:DWORD
	;; [unrolled: 1-line block ×4, first 2 shown]
	v_lshrrev_b32_e32 v54, 8, v19
	v_cndmask_b32_e32 v20, v56, v20, vcc_lo
	v_cndmask_b32_e32 v21, v58, v21, vcc_lo
	v_cndmask_b32_e32 v22, v40, v22, vcc_lo
	v_lshrrev_b32_e32 v40, 24, v19
	v_cndmask_b32_e64 v53, 15, v54, s4
	v_cmp_ne_u32_e64 s4, 3, v50
	v_lshrrev_b32_e32 v54, 16, v19
	v_cndmask_b32_e32 v23, v52, v23, vcc_lo
	v_lshrrev_b32_e32 v52, 8, v25
	v_lshlrev_b16 v53, 8, v53
	v_cndmask_b32_e64 v40, 15, v40, s4
	v_cmp_ne_u32_e64 s4, 0, v50
	v_cmp_ne_u32_e32 vcc_lo, 21, v50
	v_lshrrev_b32_e32 v56, 16, v25
	v_lshrrev_b32_e32 v57, 8, v23
	v_lshlrev_b16 v40, 8, v40
	v_cndmask_b32_e64 v55, 15, v19, s4
	v_cmp_ne_u32_e64 s4, 2, v50
	v_cndmask_b32_e32 v52, 15, v52, vcc_lo
	v_cmp_ne_u32_e32 vcc_lo, 23, v50
	v_lshrrev_b32_e32 v58, 8, v21
	v_or_b32_sdwa v53, v55, v53 dst_sel:DWORD dst_unused:UNUSED_PAD src0_sel:BYTE_0 src1_sel:DWORD
	v_cndmask_b32_e64 v54, 15, v54, s4
	v_lshrrev_b32_e32 v55, 24, v25
	v_lshlrev_b16 v52, 8, v52
	v_cmp_ne_u32_e64 s4, 18, v50
	v_lshrrev_b32_e32 v59, 24, v21
	v_or_b32_sdwa v40, v54, v40 dst_sel:WORD_1 dst_unused:UNUSED_PAD src0_sel:BYTE_0 src1_sel:DWORD
	v_cndmask_b32_e32 v54, 15, v55, vcc_lo
	v_cmp_ne_u32_e32 vcc_lo, 20, v50
	v_lshrrev_b32_e32 v62, 16, v21
	v_lshrrev_b32_e32 v63, 8, v20
	v_or_b32_sdwa v40, v53, v40 dst_sel:DWORD dst_unused:UNUSED_PAD src0_sel:WORD_0 src1_sel:DWORD
	v_lshlrev_b16 v54, 8, v54
	v_cndmask_b32_e32 v55, 15, v25, vcc_lo
	v_cmp_ne_u32_e32 vcc_lo, 22, v50
	v_lshrrev_b32_e32 v64, 24, v20
	v_lshrrev_b32_e32 v65, 16, v20
	;; [unrolled: 1-line block ×3, first 2 shown]
	v_or_b32_sdwa v52, v55, v52 dst_sel:DWORD dst_unused:UNUSED_PAD src0_sel:BYTE_0 src1_sel:DWORD
	v_cndmask_b32_e32 v56, 15, v56, vcc_lo
	v_cmp_ne_u32_e32 vcc_lo, 17, v50
	v_lshrrev_b32_e32 v55, 24, v23
	v_or_b32_sdwa v54, v56, v54 dst_sel:WORD_1 dst_unused:UNUSED_PAD src0_sel:BYTE_0 src1_sel:DWORD
	v_cndmask_b32_e32 v53, 15, v57, vcc_lo
	v_cmp_ne_u32_e32 vcc_lo, 16, v50
	v_lshlrev_b16 v53, 8, v53
	v_cndmask_b32_e32 v56, 15, v23, vcc_lo
	v_cmp_ne_u32_e32 vcc_lo, 19, v50
	v_cndmask_b32_e32 v55, 15, v55, vcc_lo
	v_cmp_eq_u32_e32 vcc_lo, 0, v51
	v_or_b32_sdwa v51, v52, v54 dst_sel:DWORD dst_unused:UNUSED_PAD src0_sel:WORD_0 src1_sel:DWORD
	v_or_b32_sdwa v52, v56, v53 dst_sel:DWORD dst_unused:UNUSED_PAD src0_sel:BYTE_0 src1_sel:DWORD
	v_lshrrev_b32_e32 v53, 16, v23
	v_lshlrev_b16 v54, 8, v55
	v_lshrrev_b32_e32 v55, 8, v22
	v_lshrrev_b32_e32 v56, 24, v22
	v_cndmask_b32_e32 v19, v40, v19, vcc_lo
	v_cndmask_b32_e64 v53, 15, v53, s4
	v_cmp_ne_u32_e64 s4, 13, v50
	v_cndmask_b32_e32 v25, v51, v25, vcc_lo
	v_or_b32_sdwa v53, v53, v54 dst_sel:WORD_1 dst_unused:UNUSED_PAD src0_sel:BYTE_0 src1_sel:DWORD
	v_cndmask_b32_e64 v55, 15, v55, s4
	v_cmp_ne_u32_e64 s4, 15, v50
	v_lshlrev_b16 v55, 8, v55
	v_cndmask_b32_e64 v56, 15, v56, s4
	v_cmp_ne_u32_e64 s4, 12, v50
	v_lshlrev_b16 v56, 8, v56
	v_cndmask_b32_e64 v57, 15, v22, s4
	v_cmp_ne_u32_e64 s4, 9, v50
	v_or_b32_sdwa v55, v57, v55 dst_sel:DWORD dst_unused:UNUSED_PAD src0_sel:BYTE_0 src1_sel:DWORD
	v_cndmask_b32_e64 v58, 15, v58, s4
	v_cmp_ne_u32_e64 s4, 11, v50
	v_lshlrev_b16 v58, 8, v58
	v_cndmask_b32_e64 v59, 15, v59, s4
	v_cmp_ne_u32_e64 s4, 8, v50
	v_lshlrev_b16 v59, 8, v59
	v_cndmask_b32_e64 v61, 15, v21, s4
	v_cmp_ne_u32_e64 s4, 10, v50
	v_or_b32_sdwa v58, v61, v58 dst_sel:DWORD dst_unused:UNUSED_PAD src0_sel:BYTE_0 src1_sel:DWORD
	v_cndmask_b32_e64 v62, 15, v62, s4
	v_cmp_ne_u32_e64 s4, 5, v50
	v_or_b32_sdwa v59, v62, v59 dst_sel:WORD_1 dst_unused:UNUSED_PAD src0_sel:BYTE_0 src1_sel:DWORD
	v_cndmask_b32_e64 v63, 15, v63, s4
	v_cmp_ne_u32_e64 s4, 7, v50
	v_lshlrev_b16 v63, 8, v63
	v_cndmask_b32_e64 v64, 15, v64, s4
	v_cmp_ne_u32_e64 s4, 4, v50
	v_lshlrev_b16 v64, 8, v64
	v_cndmask_b32_e64 v66, 15, v20, s4
	v_cmp_ne_u32_e64 s4, 6, v50
	v_cndmask_b32_e64 v65, 15, v65, s4
	v_cmp_ne_u32_e64 s4, 14, v50
	v_or_b32_sdwa v61, v65, v64 dst_sel:WORD_1 dst_unused:UNUSED_PAD src0_sel:BYTE_0 src1_sel:DWORD
	v_cndmask_b32_e64 v50, 15, v60, s4
	v_cmp_ne_u32_e64 s4, 1, v48
	v_or_b32_sdwa v60, v66, v63 dst_sel:DWORD dst_unused:UNUSED_PAD src0_sel:BYTE_0 src1_sel:DWORD
	v_or_b32_sdwa v50, v50, v56 dst_sel:WORD_1 dst_unused:UNUSED_PAD src0_sel:BYTE_0 src1_sel:DWORD
	v_or_b32_sdwa v56, v58, v59 dst_sel:DWORD dst_unused:UNUSED_PAD src0_sel:WORD_0 src1_sel:DWORD
	v_or_b32_sdwa v54, v60, v61 dst_sel:DWORD dst_unused:UNUSED_PAD src0_sel:WORD_0 src1_sel:DWORD
	v_or_b32_sdwa v40, v55, v50 dst_sel:DWORD dst_unused:UNUSED_PAD src0_sel:WORD_0 src1_sel:DWORD
	v_or_b32_sdwa v50, v52, v53 dst_sel:DWORD dst_unused:UNUSED_PAD src0_sel:WORD_0 src1_sel:DWORD
	v_lshrrev_b32_e32 v52, 8, v19
	v_cndmask_b32_e32 v20, v54, v20, vcc_lo
	v_cndmask_b32_e32 v21, v56, v21, vcc_lo
	;; [unrolled: 1-line block ×3, first 2 shown]
	v_lshrrev_b32_e32 v40, 24, v19
	v_cndmask_b32_e64 v51, 16, v52, s4
	v_cmp_ne_u32_e64 s4, 3, v48
	v_lshrrev_b32_e32 v52, 16, v19
	v_cndmask_b32_e32 v23, v50, v23, vcc_lo
	v_lshrrev_b32_e32 v50, 8, v25
	v_lshlrev_b16 v51, 8, v51
	v_cndmask_b32_e64 v40, 16, v40, s4
	v_cmp_ne_u32_e64 s4, 0, v48
	v_cmp_ne_u32_e32 vcc_lo, 21, v48
	v_lshrrev_b32_e32 v54, 16, v25
	v_lshrrev_b32_e32 v55, 8, v23
	v_lshlrev_b16 v40, 8, v40
	v_cndmask_b32_e64 v53, 16, v19, s4
	v_cmp_ne_u32_e64 s4, 2, v48
	v_cndmask_b32_e32 v50, 16, v50, vcc_lo
	v_cmp_ne_u32_e32 vcc_lo, 23, v48
	v_lshrrev_b32_e32 v56, 8, v21
	v_or_b32_sdwa v51, v53, v51 dst_sel:DWORD dst_unused:UNUSED_PAD src0_sel:BYTE_0 src1_sel:DWORD
	v_cndmask_b32_e64 v52, 16, v52, s4
	v_lshrrev_b32_e32 v53, 24, v25
	v_lshlrev_b16 v50, 8, v50
	v_cmp_ne_u32_e64 s4, 18, v48
	v_lshrrev_b32_e32 v57, 24, v21
	v_or_b32_sdwa v40, v52, v40 dst_sel:WORD_1 dst_unused:UNUSED_PAD src0_sel:BYTE_0 src1_sel:DWORD
	v_cndmask_b32_e32 v52, 16, v53, vcc_lo
	v_cmp_ne_u32_e32 vcc_lo, 20, v48
	v_lshrrev_b32_e32 v60, 16, v21
	v_lshrrev_b32_e32 v61, 8, v20
	v_or_b32_sdwa v40, v51, v40 dst_sel:DWORD dst_unused:UNUSED_PAD src0_sel:WORD_0 src1_sel:DWORD
	v_lshlrev_b16 v52, 8, v52
	v_cndmask_b32_e32 v53, 16, v25, vcc_lo
	v_cmp_ne_u32_e32 vcc_lo, 22, v48
	v_lshrrev_b32_e32 v62, 24, v20
	v_lshrrev_b32_e32 v63, 16, v20
	;; [unrolled: 1-line block ×3, first 2 shown]
	v_or_b32_sdwa v50, v53, v50 dst_sel:DWORD dst_unused:UNUSED_PAD src0_sel:BYTE_0 src1_sel:DWORD
	v_cndmask_b32_e32 v54, 16, v54, vcc_lo
	v_cmp_ne_u32_e32 vcc_lo, 17, v48
	v_lshrrev_b32_e32 v53, 24, v23
	v_or_b32_sdwa v52, v54, v52 dst_sel:WORD_1 dst_unused:UNUSED_PAD src0_sel:BYTE_0 src1_sel:DWORD
	v_cndmask_b32_e32 v51, 16, v55, vcc_lo
	v_cmp_ne_u32_e32 vcc_lo, 16, v48
	v_lshlrev_b16 v51, 8, v51
	v_cndmask_b32_e32 v54, 16, v23, vcc_lo
	v_cmp_ne_u32_e32 vcc_lo, 19, v48
	v_cndmask_b32_e32 v53, 16, v53, vcc_lo
	v_cmp_eq_u32_e32 vcc_lo, 0, v49
	v_or_b32_sdwa v49, v50, v52 dst_sel:DWORD dst_unused:UNUSED_PAD src0_sel:WORD_0 src1_sel:DWORD
	v_or_b32_sdwa v50, v54, v51 dst_sel:DWORD dst_unused:UNUSED_PAD src0_sel:BYTE_0 src1_sel:DWORD
	v_lshrrev_b32_e32 v51, 16, v23
	v_lshlrev_b16 v52, 8, v53
	v_lshrrev_b32_e32 v53, 8, v22
	v_lshrrev_b32_e32 v54, 24, v22
	v_cndmask_b32_e32 v19, v40, v19, vcc_lo
	v_cndmask_b32_e64 v51, 16, v51, s4
	v_cmp_ne_u32_e64 s4, 13, v48
	v_cndmask_b32_e32 v25, v49, v25, vcc_lo
	v_or_b32_sdwa v51, v51, v52 dst_sel:WORD_1 dst_unused:UNUSED_PAD src0_sel:BYTE_0 src1_sel:DWORD
	v_cndmask_b32_e64 v53, 16, v53, s4
	v_cmp_ne_u32_e64 s4, 15, v48
	v_lshlrev_b16 v53, 8, v53
	v_cndmask_b32_e64 v54, 16, v54, s4
	v_cmp_ne_u32_e64 s4, 12, v48
	v_lshlrev_b16 v54, 8, v54
	v_cndmask_b32_e64 v55, 16, v22, s4
	v_cmp_ne_u32_e64 s4, 9, v48
	v_or_b32_sdwa v53, v55, v53 dst_sel:DWORD dst_unused:UNUSED_PAD src0_sel:BYTE_0 src1_sel:DWORD
	v_cndmask_b32_e64 v56, 16, v56, s4
	v_cmp_ne_u32_e64 s4, 11, v48
	v_lshlrev_b16 v56, 8, v56
	v_cndmask_b32_e64 v57, 16, v57, s4
	v_cmp_ne_u32_e64 s4, 8, v48
	v_lshlrev_b16 v57, 8, v57
	v_cndmask_b32_e64 v59, 16, v21, s4
	v_cmp_ne_u32_e64 s4, 10, v48
	v_or_b32_sdwa v56, v59, v56 dst_sel:DWORD dst_unused:UNUSED_PAD src0_sel:BYTE_0 src1_sel:DWORD
	v_cndmask_b32_e64 v60, 16, v60, s4
	v_cmp_ne_u32_e64 s4, 5, v48
	v_or_b32_sdwa v57, v60, v57 dst_sel:WORD_1 dst_unused:UNUSED_PAD src0_sel:BYTE_0 src1_sel:DWORD
	v_cndmask_b32_e64 v61, 16, v61, s4
	v_cmp_ne_u32_e64 s4, 7, v48
	v_lshlrev_b16 v61, 8, v61
	v_cndmask_b32_e64 v62, 16, v62, s4
	v_cmp_ne_u32_e64 s4, 4, v48
	v_lshlrev_b16 v62, 8, v62
	v_cndmask_b32_e64 v64, 16, v20, s4
	v_cmp_ne_u32_e64 s4, 6, v48
	v_cndmask_b32_e64 v63, 16, v63, s4
	v_cmp_ne_u32_e64 s4, 14, v48
	v_or_b32_sdwa v59, v63, v62 dst_sel:WORD_1 dst_unused:UNUSED_PAD src0_sel:BYTE_0 src1_sel:DWORD
	v_cndmask_b32_e64 v48, 16, v58, s4
	v_cmp_ne_u32_e64 s4, 1, v46
	v_or_b32_sdwa v58, v64, v61 dst_sel:DWORD dst_unused:UNUSED_PAD src0_sel:BYTE_0 src1_sel:DWORD
	v_or_b32_sdwa v48, v48, v54 dst_sel:WORD_1 dst_unused:UNUSED_PAD src0_sel:BYTE_0 src1_sel:DWORD
	v_or_b32_sdwa v54, v56, v57 dst_sel:DWORD dst_unused:UNUSED_PAD src0_sel:WORD_0 src1_sel:DWORD
	v_or_b32_sdwa v52, v58, v59 dst_sel:DWORD dst_unused:UNUSED_PAD src0_sel:WORD_0 src1_sel:DWORD
	;; [unrolled: 1-line block ×4, first 2 shown]
	v_lshrrev_b32_e32 v50, 8, v19
	v_cndmask_b32_e32 v20, v52, v20, vcc_lo
	v_cndmask_b32_e32 v21, v54, v21, vcc_lo
	;; [unrolled: 1-line block ×3, first 2 shown]
	v_lshrrev_b32_e32 v40, 24, v19
	v_cndmask_b32_e64 v49, 17, v50, s4
	v_cmp_ne_u32_e64 s4, 3, v46
	v_lshrrev_b32_e32 v50, 16, v19
	v_cndmask_b32_e32 v23, v48, v23, vcc_lo
	v_lshrrev_b32_e32 v48, 8, v25
	v_lshlrev_b16 v49, 8, v49
	v_cndmask_b32_e64 v40, 17, v40, s4
	v_cmp_ne_u32_e64 s4, 0, v46
	v_cmp_ne_u32_e32 vcc_lo, 21, v46
	v_lshrrev_b32_e32 v52, 16, v25
	v_lshrrev_b32_e32 v53, 8, v23
	v_lshlrev_b16 v40, 8, v40
	v_cndmask_b32_e64 v51, 17, v19, s4
	v_cmp_ne_u32_e64 s4, 2, v46
	v_cndmask_b32_e32 v48, 17, v48, vcc_lo
	v_cmp_ne_u32_e32 vcc_lo, 23, v46
	v_lshrrev_b32_e32 v54, 8, v21
	v_or_b32_sdwa v49, v51, v49 dst_sel:DWORD dst_unused:UNUSED_PAD src0_sel:BYTE_0 src1_sel:DWORD
	v_cndmask_b32_e64 v50, 17, v50, s4
	v_lshrrev_b32_e32 v51, 24, v25
	v_lshlrev_b16 v48, 8, v48
	v_cmp_ne_u32_e64 s4, 18, v46
	v_lshrrev_b32_e32 v55, 24, v21
	v_or_b32_sdwa v40, v50, v40 dst_sel:WORD_1 dst_unused:UNUSED_PAD src0_sel:BYTE_0 src1_sel:DWORD
	v_cndmask_b32_e32 v50, 17, v51, vcc_lo
	v_cmp_ne_u32_e32 vcc_lo, 20, v46
	v_lshrrev_b32_e32 v58, 16, v21
	v_lshrrev_b32_e32 v59, 8, v20
	v_or_b32_sdwa v40, v49, v40 dst_sel:DWORD dst_unused:UNUSED_PAD src0_sel:WORD_0 src1_sel:DWORD
	v_lshlrev_b16 v50, 8, v50
	v_cndmask_b32_e32 v51, 17, v25, vcc_lo
	v_cmp_ne_u32_e32 vcc_lo, 22, v46
	v_lshrrev_b32_e32 v60, 24, v20
	v_lshrrev_b32_e32 v61, 16, v20
	;; [unrolled: 1-line block ×3, first 2 shown]
	v_or_b32_sdwa v48, v51, v48 dst_sel:DWORD dst_unused:UNUSED_PAD src0_sel:BYTE_0 src1_sel:DWORD
	v_cndmask_b32_e32 v52, 17, v52, vcc_lo
	v_cmp_ne_u32_e32 vcc_lo, 17, v46
	v_lshrrev_b32_e32 v51, 24, v23
	v_or_b32_sdwa v50, v52, v50 dst_sel:WORD_1 dst_unused:UNUSED_PAD src0_sel:BYTE_0 src1_sel:DWORD
	v_cndmask_b32_e32 v49, 17, v53, vcc_lo
	v_cmp_ne_u32_e32 vcc_lo, 16, v46
	v_lshlrev_b16 v49, 8, v49
	v_cndmask_b32_e32 v52, 17, v23, vcc_lo
	v_cmp_ne_u32_e32 vcc_lo, 19, v46
	v_cndmask_b32_e32 v51, 17, v51, vcc_lo
	v_cmp_eq_u32_e32 vcc_lo, 0, v47
	v_or_b32_sdwa v47, v48, v50 dst_sel:DWORD dst_unused:UNUSED_PAD src0_sel:WORD_0 src1_sel:DWORD
	v_or_b32_sdwa v48, v52, v49 dst_sel:DWORD dst_unused:UNUSED_PAD src0_sel:BYTE_0 src1_sel:DWORD
	v_lshrrev_b32_e32 v49, 16, v23
	v_lshlrev_b16 v50, 8, v51
	v_lshrrev_b32_e32 v51, 8, v22
	v_lshrrev_b32_e32 v52, 24, v22
	v_cndmask_b32_e32 v19, v40, v19, vcc_lo
	v_cndmask_b32_e64 v49, 17, v49, s4
	v_cmp_ne_u32_e64 s4, 13, v46
	v_cndmask_b32_e32 v25, v47, v25, vcc_lo
	v_or_b32_sdwa v49, v49, v50 dst_sel:WORD_1 dst_unused:UNUSED_PAD src0_sel:BYTE_0 src1_sel:DWORD
	v_cndmask_b32_e64 v51, 17, v51, s4
	v_cmp_ne_u32_e64 s4, 15, v46
	v_lshlrev_b16 v51, 8, v51
	v_cndmask_b32_e64 v52, 17, v52, s4
	v_cmp_ne_u32_e64 s4, 12, v46
	v_lshlrev_b16 v52, 8, v52
	v_cndmask_b32_e64 v53, 17, v22, s4
	v_cmp_ne_u32_e64 s4, 9, v46
	v_or_b32_sdwa v51, v53, v51 dst_sel:DWORD dst_unused:UNUSED_PAD src0_sel:BYTE_0 src1_sel:DWORD
	v_cndmask_b32_e64 v54, 17, v54, s4
	v_cmp_ne_u32_e64 s4, 11, v46
	v_lshlrev_b16 v54, 8, v54
	v_cndmask_b32_e64 v55, 17, v55, s4
	v_cmp_ne_u32_e64 s4, 8, v46
	v_lshlrev_b16 v55, 8, v55
	v_cndmask_b32_e64 v57, 17, v21, s4
	v_cmp_ne_u32_e64 s4, 10, v46
	v_or_b32_sdwa v54, v57, v54 dst_sel:DWORD dst_unused:UNUSED_PAD src0_sel:BYTE_0 src1_sel:DWORD
	v_cndmask_b32_e64 v58, 17, v58, s4
	v_cmp_ne_u32_e64 s4, 5, v46
	v_or_b32_sdwa v55, v58, v55 dst_sel:WORD_1 dst_unused:UNUSED_PAD src0_sel:BYTE_0 src1_sel:DWORD
	v_cndmask_b32_e64 v59, 17, v59, s4
	v_cmp_ne_u32_e64 s4, 7, v46
	v_lshlrev_b16 v59, 8, v59
	v_cndmask_b32_e64 v60, 17, v60, s4
	v_cmp_ne_u32_e64 s4, 4, v46
	v_lshlrev_b16 v60, 8, v60
	v_cndmask_b32_e64 v62, 17, v20, s4
	v_cmp_ne_u32_e64 s4, 6, v46
	v_cndmask_b32_e64 v61, 17, v61, s4
	v_cmp_ne_u32_e64 s4, 14, v46
	v_or_b32_sdwa v57, v61, v60 dst_sel:WORD_1 dst_unused:UNUSED_PAD src0_sel:BYTE_0 src1_sel:DWORD
	v_cndmask_b32_e64 v46, 17, v56, s4
	v_cmp_ne_u32_e64 s4, 1, v44
	v_or_b32_sdwa v56, v62, v59 dst_sel:DWORD dst_unused:UNUSED_PAD src0_sel:BYTE_0 src1_sel:DWORD
	v_or_b32_sdwa v46, v46, v52 dst_sel:WORD_1 dst_unused:UNUSED_PAD src0_sel:BYTE_0 src1_sel:DWORD
	v_or_b32_sdwa v52, v54, v55 dst_sel:DWORD dst_unused:UNUSED_PAD src0_sel:WORD_0 src1_sel:DWORD
	v_or_b32_sdwa v50, v56, v57 dst_sel:DWORD dst_unused:UNUSED_PAD src0_sel:WORD_0 src1_sel:DWORD
	;; [unrolled: 1-line block ×4, first 2 shown]
	v_lshrrev_b32_e32 v48, 8, v19
	v_cndmask_b32_e32 v20, v50, v20, vcc_lo
	v_cndmask_b32_e32 v21, v52, v21, vcc_lo
	;; [unrolled: 1-line block ×3, first 2 shown]
	v_lshrrev_b32_e32 v40, 24, v19
	v_cndmask_b32_e64 v47, 18, v48, s4
	v_cmp_ne_u32_e64 s4, 3, v44
	v_lshrrev_b32_e32 v48, 16, v19
	v_cndmask_b32_e32 v23, v46, v23, vcc_lo
	v_lshrrev_b32_e32 v46, 8, v25
	v_lshlrev_b16 v47, 8, v47
	v_cndmask_b32_e64 v40, 18, v40, s4
	v_cmp_ne_u32_e64 s4, 0, v44
	v_cmp_ne_u32_e32 vcc_lo, 21, v44
	v_lshrrev_b32_e32 v50, 16, v25
	v_lshrrev_b32_e32 v51, 8, v23
	v_lshlrev_b16 v40, 8, v40
	v_cndmask_b32_e64 v49, 18, v19, s4
	v_cmp_ne_u32_e64 s4, 2, v44
	v_cndmask_b32_e32 v46, 18, v46, vcc_lo
	v_cmp_ne_u32_e32 vcc_lo, 23, v44
	v_lshrrev_b32_e32 v52, 8, v21
	v_or_b32_sdwa v47, v49, v47 dst_sel:DWORD dst_unused:UNUSED_PAD src0_sel:BYTE_0 src1_sel:DWORD
	v_cndmask_b32_e64 v48, 18, v48, s4
	v_lshrrev_b32_e32 v49, 24, v25
	v_lshlrev_b16 v46, 8, v46
	v_cmp_ne_u32_e64 s4, 18, v44
	v_lshrrev_b32_e32 v53, 24, v21
	v_or_b32_sdwa v40, v48, v40 dst_sel:WORD_1 dst_unused:UNUSED_PAD src0_sel:BYTE_0 src1_sel:DWORD
	v_cndmask_b32_e32 v48, 18, v49, vcc_lo
	v_cmp_ne_u32_e32 vcc_lo, 20, v44
	v_lshrrev_b32_e32 v56, 16, v21
	v_lshrrev_b32_e32 v57, 8, v20
	v_or_b32_sdwa v40, v47, v40 dst_sel:DWORD dst_unused:UNUSED_PAD src0_sel:WORD_0 src1_sel:DWORD
	v_lshlrev_b16 v48, 8, v48
	v_cndmask_b32_e32 v49, 18, v25, vcc_lo
	v_cmp_ne_u32_e32 vcc_lo, 22, v44
	v_lshrrev_b32_e32 v58, 24, v20
	v_lshrrev_b32_e32 v59, 16, v20
	;; [unrolled: 1-line block ×3, first 2 shown]
	v_or_b32_sdwa v46, v49, v46 dst_sel:DWORD dst_unused:UNUSED_PAD src0_sel:BYTE_0 src1_sel:DWORD
	v_cndmask_b32_e32 v50, 18, v50, vcc_lo
	v_cmp_ne_u32_e32 vcc_lo, 17, v44
	v_lshrrev_b32_e32 v49, 24, v23
	v_or_b32_sdwa v48, v50, v48 dst_sel:WORD_1 dst_unused:UNUSED_PAD src0_sel:BYTE_0 src1_sel:DWORD
	v_cndmask_b32_e32 v47, 18, v51, vcc_lo
	v_cmp_ne_u32_e32 vcc_lo, 16, v44
	v_lshlrev_b16 v47, 8, v47
	v_cndmask_b32_e32 v50, 18, v23, vcc_lo
	v_cmp_ne_u32_e32 vcc_lo, 19, v44
	v_cndmask_b32_e32 v49, 18, v49, vcc_lo
	v_cmp_eq_u32_e32 vcc_lo, 0, v45
	v_or_b32_sdwa v45, v46, v48 dst_sel:DWORD dst_unused:UNUSED_PAD src0_sel:WORD_0 src1_sel:DWORD
	v_or_b32_sdwa v46, v50, v47 dst_sel:DWORD dst_unused:UNUSED_PAD src0_sel:BYTE_0 src1_sel:DWORD
	v_lshrrev_b32_e32 v47, 16, v23
	v_lshlrev_b16 v48, 8, v49
	v_lshrrev_b32_e32 v49, 8, v22
	v_lshrrev_b32_e32 v50, 24, v22
	v_cndmask_b32_e32 v19, v40, v19, vcc_lo
	v_cndmask_b32_e64 v47, 18, v47, s4
	v_cmp_ne_u32_e64 s4, 13, v44
	v_cndmask_b32_e32 v25, v45, v25, vcc_lo
	v_or_b32_sdwa v47, v47, v48 dst_sel:WORD_1 dst_unused:UNUSED_PAD src0_sel:BYTE_0 src1_sel:DWORD
	v_cndmask_b32_e64 v49, 18, v49, s4
	v_cmp_ne_u32_e64 s4, 15, v44
	v_lshlrev_b16 v49, 8, v49
	v_cndmask_b32_e64 v50, 18, v50, s4
	v_cmp_ne_u32_e64 s4, 12, v44
	v_lshlrev_b16 v50, 8, v50
	v_cndmask_b32_e64 v51, 18, v22, s4
	v_cmp_ne_u32_e64 s4, 9, v44
	v_or_b32_sdwa v49, v51, v49 dst_sel:DWORD dst_unused:UNUSED_PAD src0_sel:BYTE_0 src1_sel:DWORD
	v_cndmask_b32_e64 v52, 18, v52, s4
	v_cmp_ne_u32_e64 s4, 11, v44
	v_lshlrev_b16 v52, 8, v52
	v_cndmask_b32_e64 v53, 18, v53, s4
	v_cmp_ne_u32_e64 s4, 8, v44
	v_lshlrev_b16 v53, 8, v53
	v_cndmask_b32_e64 v55, 18, v21, s4
	v_cmp_ne_u32_e64 s4, 10, v44
	v_or_b32_sdwa v52, v55, v52 dst_sel:DWORD dst_unused:UNUSED_PAD src0_sel:BYTE_0 src1_sel:DWORD
	v_cndmask_b32_e64 v56, 18, v56, s4
	v_cmp_ne_u32_e64 s4, 5, v44
	v_or_b32_sdwa v53, v56, v53 dst_sel:WORD_1 dst_unused:UNUSED_PAD src0_sel:BYTE_0 src1_sel:DWORD
	v_cndmask_b32_e64 v57, 18, v57, s4
	v_cmp_ne_u32_e64 s4, 7, v44
	v_lshlrev_b16 v57, 8, v57
	v_cndmask_b32_e64 v58, 18, v58, s4
	v_cmp_ne_u32_e64 s4, 4, v44
	v_lshlrev_b16 v58, 8, v58
	v_cndmask_b32_e64 v60, 18, v20, s4
	v_cmp_ne_u32_e64 s4, 6, v44
	v_cndmask_b32_e64 v59, 18, v59, s4
	v_cmp_ne_u32_e64 s4, 14, v44
	v_or_b32_sdwa v55, v59, v58 dst_sel:WORD_1 dst_unused:UNUSED_PAD src0_sel:BYTE_0 src1_sel:DWORD
	v_cndmask_b32_e64 v44, 18, v54, s4
	v_cmp_ne_u32_e64 s4, 1, v42
	v_or_b32_sdwa v54, v60, v57 dst_sel:DWORD dst_unused:UNUSED_PAD src0_sel:BYTE_0 src1_sel:DWORD
	v_or_b32_sdwa v44, v44, v50 dst_sel:WORD_1 dst_unused:UNUSED_PAD src0_sel:BYTE_0 src1_sel:DWORD
	v_or_b32_sdwa v50, v52, v53 dst_sel:DWORD dst_unused:UNUSED_PAD src0_sel:WORD_0 src1_sel:DWORD
	v_or_b32_sdwa v48, v54, v55 dst_sel:DWORD dst_unused:UNUSED_PAD src0_sel:WORD_0 src1_sel:DWORD
	;; [unrolled: 1-line block ×4, first 2 shown]
	v_lshrrev_b32_e32 v46, 8, v19
	v_cndmask_b32_e32 v20, v48, v20, vcc_lo
	v_cndmask_b32_e32 v21, v50, v21, vcc_lo
	;; [unrolled: 1-line block ×3, first 2 shown]
	v_lshrrev_b32_e32 v40, 24, v19
	v_cndmask_b32_e64 v45, 19, v46, s4
	v_cmp_ne_u32_e64 s4, 3, v42
	v_lshrrev_b32_e32 v46, 16, v19
	v_cndmask_b32_e32 v23, v44, v23, vcc_lo
	v_lshrrev_b32_e32 v44, 8, v25
	v_lshlrev_b16 v45, 8, v45
	v_cndmask_b32_e64 v40, 19, v40, s4
	v_cmp_ne_u32_e64 s4, 0, v42
	v_cmp_ne_u32_e32 vcc_lo, 21, v42
	v_lshrrev_b32_e32 v48, 16, v25
	v_lshrrev_b32_e32 v49, 8, v23
	v_lshlrev_b16 v40, 8, v40
	v_cndmask_b32_e64 v47, 19, v19, s4
	v_cmp_ne_u32_e64 s4, 2, v42
	v_cndmask_b32_e32 v44, 19, v44, vcc_lo
	v_cmp_ne_u32_e32 vcc_lo, 23, v42
	v_lshrrev_b32_e32 v50, 8, v21
	v_or_b32_sdwa v45, v47, v45 dst_sel:DWORD dst_unused:UNUSED_PAD src0_sel:BYTE_0 src1_sel:DWORD
	v_cndmask_b32_e64 v46, 19, v46, s4
	v_lshrrev_b32_e32 v47, 24, v25
	v_lshlrev_b16 v44, 8, v44
	v_cmp_ne_u32_e64 s4, 18, v42
	v_lshrrev_b32_e32 v51, 24, v21
	v_or_b32_sdwa v40, v46, v40 dst_sel:WORD_1 dst_unused:UNUSED_PAD src0_sel:BYTE_0 src1_sel:DWORD
	v_cndmask_b32_e32 v46, 19, v47, vcc_lo
	v_cmp_ne_u32_e32 vcc_lo, 20, v42
	v_lshrrev_b32_e32 v54, 16, v21
	v_lshrrev_b32_e32 v55, 8, v20
	v_or_b32_sdwa v40, v45, v40 dst_sel:DWORD dst_unused:UNUSED_PAD src0_sel:WORD_0 src1_sel:DWORD
	v_lshlrev_b16 v46, 8, v46
	v_cndmask_b32_e32 v47, 19, v25, vcc_lo
	v_cmp_ne_u32_e32 vcc_lo, 22, v42
	v_lshrrev_b32_e32 v56, 24, v20
	v_lshrrev_b32_e32 v57, 16, v20
	;; [unrolled: 1-line block ×3, first 2 shown]
	v_or_b32_sdwa v44, v47, v44 dst_sel:DWORD dst_unused:UNUSED_PAD src0_sel:BYTE_0 src1_sel:DWORD
	v_cndmask_b32_e32 v48, 19, v48, vcc_lo
	v_cmp_ne_u32_e32 vcc_lo, 17, v42
	v_lshrrev_b32_e32 v47, 24, v23
	v_or_b32_sdwa v46, v48, v46 dst_sel:WORD_1 dst_unused:UNUSED_PAD src0_sel:BYTE_0 src1_sel:DWORD
	v_cndmask_b32_e32 v45, 19, v49, vcc_lo
	v_cmp_ne_u32_e32 vcc_lo, 16, v42
	v_lshlrev_b16 v45, 8, v45
	v_cndmask_b32_e32 v48, 19, v23, vcc_lo
	v_cmp_ne_u32_e32 vcc_lo, 19, v42
	v_cndmask_b32_e32 v47, 19, v47, vcc_lo
	v_cmp_eq_u32_e32 vcc_lo, 0, v43
	v_or_b32_sdwa v43, v44, v46 dst_sel:DWORD dst_unused:UNUSED_PAD src0_sel:WORD_0 src1_sel:DWORD
	v_or_b32_sdwa v44, v48, v45 dst_sel:DWORD dst_unused:UNUSED_PAD src0_sel:BYTE_0 src1_sel:DWORD
	v_lshrrev_b32_e32 v45, 16, v23
	v_lshlrev_b16 v46, 8, v47
	v_lshrrev_b32_e32 v47, 8, v22
	v_lshrrev_b32_e32 v48, 24, v22
	v_cndmask_b32_e32 v19, v40, v19, vcc_lo
	v_cndmask_b32_e64 v45, 19, v45, s4
	v_cmp_ne_u32_e64 s4, 13, v42
	v_cndmask_b32_e32 v25, v43, v25, vcc_lo
	v_or_b32_sdwa v45, v45, v46 dst_sel:WORD_1 dst_unused:UNUSED_PAD src0_sel:BYTE_0 src1_sel:DWORD
	v_cndmask_b32_e64 v47, 19, v47, s4
	v_cmp_ne_u32_e64 s4, 15, v42
	v_lshlrev_b16 v47, 8, v47
	v_cndmask_b32_e64 v48, 19, v48, s4
	v_cmp_ne_u32_e64 s4, 12, v42
	v_lshlrev_b16 v48, 8, v48
	v_cndmask_b32_e64 v49, 19, v22, s4
	v_cmp_ne_u32_e64 s4, 9, v42
	v_or_b32_sdwa v47, v49, v47 dst_sel:DWORD dst_unused:UNUSED_PAD src0_sel:BYTE_0 src1_sel:DWORD
	v_cndmask_b32_e64 v50, 19, v50, s4
	v_cmp_ne_u32_e64 s4, 11, v42
	v_lshlrev_b16 v50, 8, v50
	v_cndmask_b32_e64 v51, 19, v51, s4
	v_cmp_ne_u32_e64 s4, 8, v42
	v_lshlrev_b16 v51, 8, v51
	v_cndmask_b32_e64 v53, 19, v21, s4
	v_cmp_ne_u32_e64 s4, 10, v42
	v_or_b32_sdwa v50, v53, v50 dst_sel:DWORD dst_unused:UNUSED_PAD src0_sel:BYTE_0 src1_sel:DWORD
	v_cndmask_b32_e64 v54, 19, v54, s4
	v_cmp_ne_u32_e64 s4, 5, v42
	v_or_b32_sdwa v51, v54, v51 dst_sel:WORD_1 dst_unused:UNUSED_PAD src0_sel:BYTE_0 src1_sel:DWORD
	v_cndmask_b32_e64 v55, 19, v55, s4
	v_cmp_ne_u32_e64 s4, 7, v42
	v_lshlrev_b16 v55, 8, v55
	v_cndmask_b32_e64 v56, 19, v56, s4
	v_cmp_ne_u32_e64 s4, 4, v42
	v_lshlrev_b16 v56, 8, v56
	v_cndmask_b32_e64 v58, 19, v20, s4
	v_cmp_ne_u32_e64 s4, 6, v42
	v_cndmask_b32_e64 v57, 19, v57, s4
	v_cmp_ne_u32_e64 s4, 14, v42
	v_or_b32_sdwa v53, v57, v56 dst_sel:WORD_1 dst_unused:UNUSED_PAD src0_sel:BYTE_0 src1_sel:DWORD
	v_cndmask_b32_e64 v42, 19, v52, s4
	v_cmp_ne_u32_e64 s4, 1, v35
	v_or_b32_sdwa v52, v58, v55 dst_sel:DWORD dst_unused:UNUSED_PAD src0_sel:BYTE_0 src1_sel:DWORD
	v_or_b32_sdwa v42, v42, v48 dst_sel:WORD_1 dst_unused:UNUSED_PAD src0_sel:BYTE_0 src1_sel:DWORD
	v_or_b32_sdwa v48, v50, v51 dst_sel:DWORD dst_unused:UNUSED_PAD src0_sel:WORD_0 src1_sel:DWORD
	v_or_b32_sdwa v46, v52, v53 dst_sel:DWORD dst_unused:UNUSED_PAD src0_sel:WORD_0 src1_sel:DWORD
	;; [unrolled: 1-line block ×4, first 2 shown]
	v_lshrrev_b32_e32 v44, 8, v19
	v_cndmask_b32_e32 v20, v46, v20, vcc_lo
	v_cndmask_b32_e32 v21, v48, v21, vcc_lo
	v_cndmask_b32_e32 v22, v40, v22, vcc_lo
	v_lshrrev_b32_e32 v40, 24, v19
	v_cndmask_b32_e64 v43, 20, v44, s4
	v_cmp_ne_u32_e64 s4, 3, v35
	v_lshrrev_b32_e32 v44, 16, v19
	v_cndmask_b32_e32 v23, v42, v23, vcc_lo
	v_lshrrev_b32_e32 v42, 8, v25
	v_lshlrev_b16 v43, 8, v43
	v_cndmask_b32_e64 v40, 20, v40, s4
	v_cmp_ne_u32_e64 s4, 0, v35
	v_cmp_ne_u32_e32 vcc_lo, 21, v35
	v_lshrrev_b32_e32 v46, 16, v25
	v_lshrrev_b32_e32 v47, 8, v23
	v_lshlrev_b16 v40, 8, v40
	v_cndmask_b32_e64 v45, 20, v19, s4
	v_cmp_ne_u32_e64 s4, 2, v35
	v_cndmask_b32_e32 v42, 20, v42, vcc_lo
	v_cmp_ne_u32_e32 vcc_lo, 23, v35
	v_lshrrev_b32_e32 v48, 8, v21
	v_or_b32_sdwa v43, v45, v43 dst_sel:DWORD dst_unused:UNUSED_PAD src0_sel:BYTE_0 src1_sel:DWORD
	v_cndmask_b32_e64 v44, 20, v44, s4
	v_lshrrev_b32_e32 v45, 24, v25
	v_lshlrev_b16 v42, 8, v42
	v_cmp_ne_u32_e64 s4, 18, v35
	v_lshrrev_b32_e32 v49, 24, v21
	v_or_b32_sdwa v40, v44, v40 dst_sel:WORD_1 dst_unused:UNUSED_PAD src0_sel:BYTE_0 src1_sel:DWORD
	v_cndmask_b32_e32 v44, 20, v45, vcc_lo
	v_cmp_ne_u32_e32 vcc_lo, 20, v35
	v_lshrrev_b32_e32 v52, 16, v21
	v_lshrrev_b32_e32 v53, 8, v20
	v_or_b32_sdwa v40, v43, v40 dst_sel:DWORD dst_unused:UNUSED_PAD src0_sel:WORD_0 src1_sel:DWORD
	v_lshlrev_b16 v44, 8, v44
	v_cndmask_b32_e32 v45, 20, v25, vcc_lo
	v_cmp_ne_u32_e32 vcc_lo, 22, v35
	v_lshrrev_b32_e32 v54, 24, v20
	v_lshrrev_b32_e32 v55, 16, v20
	;; [unrolled: 1-line block ×3, first 2 shown]
	v_or_b32_sdwa v42, v45, v42 dst_sel:DWORD dst_unused:UNUSED_PAD src0_sel:BYTE_0 src1_sel:DWORD
	v_cndmask_b32_e32 v46, 20, v46, vcc_lo
	v_cmp_ne_u32_e32 vcc_lo, 17, v35
	v_lshrrev_b32_e32 v45, 24, v23
	v_or_b32_sdwa v44, v46, v44 dst_sel:WORD_1 dst_unused:UNUSED_PAD src0_sel:BYTE_0 src1_sel:DWORD
	v_cndmask_b32_e32 v43, 20, v47, vcc_lo
	v_cmp_ne_u32_e32 vcc_lo, 16, v35
	v_lshlrev_b16 v43, 8, v43
	v_cndmask_b32_e32 v46, 20, v23, vcc_lo
	v_cmp_ne_u32_e32 vcc_lo, 19, v35
	v_cndmask_b32_e32 v45, 20, v45, vcc_lo
	v_cmp_eq_u32_e32 vcc_lo, 0, v41
	v_or_b32_sdwa v41, v42, v44 dst_sel:DWORD dst_unused:UNUSED_PAD src0_sel:WORD_0 src1_sel:DWORD
	v_or_b32_sdwa v42, v46, v43 dst_sel:DWORD dst_unused:UNUSED_PAD src0_sel:BYTE_0 src1_sel:DWORD
	v_lshrrev_b32_e32 v43, 16, v23
	v_lshlrev_b16 v44, 8, v45
	v_lshrrev_b32_e32 v45, 8, v22
	v_lshrrev_b32_e32 v46, 24, v22
	v_cndmask_b32_e32 v19, v40, v19, vcc_lo
	v_cndmask_b32_e64 v43, 20, v43, s4
	v_cmp_ne_u32_e64 s4, 13, v35
	v_cndmask_b32_e32 v25, v41, v25, vcc_lo
	v_or_b32_sdwa v43, v43, v44 dst_sel:WORD_1 dst_unused:UNUSED_PAD src0_sel:BYTE_0 src1_sel:DWORD
	v_cndmask_b32_e64 v45, 20, v45, s4
	v_cmp_ne_u32_e64 s4, 15, v35
	v_or_b32_sdwa v40, v42, v43 dst_sel:DWORD dst_unused:UNUSED_PAD src0_sel:WORD_0 src1_sel:DWORD
	v_lshlrev_b16 v45, 8, v45
	v_cndmask_b32_e64 v46, 20, v46, s4
	v_cmp_ne_u32_e64 s4, 12, v35
	v_lshrrev_b32_e32 v42, 8, v19
	v_cndmask_b32_e32 v23, v40, v23, vcc_lo
	v_lshrrev_b32_e32 v40, 8, v25
	v_lshlrev_b16 v46, 8, v46
	v_cndmask_b32_e64 v47, 20, v22, s4
	v_cmp_ne_u32_e64 s4, 9, v35
	v_or_b32_sdwa v45, v47, v45 dst_sel:DWORD dst_unused:UNUSED_PAD src0_sel:BYTE_0 src1_sel:DWORD
	v_cndmask_b32_e64 v48, 20, v48, s4
	v_cmp_ne_u32_e64 s4, 11, v35
	v_lshlrev_b16 v48, 8, v48
	v_cndmask_b32_e64 v49, 20, v49, s4
	v_cmp_ne_u32_e64 s4, 8, v35
	v_lshlrev_b16 v49, 8, v49
	v_cndmask_b32_e64 v51, 20, v21, s4
	v_cmp_ne_u32_e64 s4, 10, v35
	v_or_b32_sdwa v48, v51, v48 dst_sel:DWORD dst_unused:UNUSED_PAD src0_sel:BYTE_0 src1_sel:DWORD
	v_cndmask_b32_e64 v52, 20, v52, s4
	v_cmp_ne_u32_e64 s4, 5, v35
	v_or_b32_sdwa v49, v52, v49 dst_sel:WORD_1 dst_unused:UNUSED_PAD src0_sel:BYTE_0 src1_sel:DWORD
	v_cndmask_b32_e64 v53, 20, v53, s4
	v_cmp_ne_u32_e64 s4, 7, v35
	v_lshlrev_b16 v53, 8, v53
	v_cndmask_b32_e64 v54, 20, v54, s4
	v_cmp_ne_u32_e64 s4, 4, v35
	v_lshlrev_b16 v54, 8, v54
	v_cndmask_b32_e64 v56, 20, v20, s4
	v_cmp_ne_u32_e64 s4, 6, v35
	v_cndmask_b32_e64 v55, 20, v55, s4
	v_cmp_ne_u32_e64 s4, 14, v35
	v_or_b32_sdwa v51, v55, v54 dst_sel:WORD_1 dst_unused:UNUSED_PAD src0_sel:BYTE_0 src1_sel:DWORD
	v_cndmask_b32_e64 v35, 20, v50, s4
	v_cmp_ne_u32_e64 s4, 1, v29
	v_or_b32_sdwa v50, v56, v53 dst_sel:DWORD dst_unused:UNUSED_PAD src0_sel:BYTE_0 src1_sel:DWORD
	v_or_b32_sdwa v35, v35, v46 dst_sel:WORD_1 dst_unused:UNUSED_PAD src0_sel:BYTE_0 src1_sel:DWORD
	v_cndmask_b32_e64 v41, 21, v42, s4
	v_cmp_ne_u32_e64 s4, 3, v29
	v_or_b32_sdwa v44, v50, v51 dst_sel:DWORD dst_unused:UNUSED_PAD src0_sel:WORD_0 src1_sel:DWORD
	v_or_b32_sdwa v46, v48, v49 dst_sel:DWORD dst_unused:UNUSED_PAD src0_sel:WORD_0 src1_sel:DWORD
	v_or_b32_sdwa v35, v45, v35 dst_sel:DWORD dst_unused:UNUSED_PAD src0_sel:WORD_0 src1_sel:DWORD
	v_lshrrev_b32_e32 v42, 16, v19
	v_lshlrev_b16 v41, 8, v41
	v_cndmask_b32_e32 v20, v44, v20, vcc_lo
	v_cndmask_b32_e32 v21, v46, v21, vcc_lo
	;; [unrolled: 1-line block ×3, first 2 shown]
	v_lshrrev_b32_e32 v35, 24, v19
	v_cmp_ne_u32_e32 vcc_lo, 21, v29
	v_lshrrev_b32_e32 v50, 8, v20
	v_lshrrev_b32_e32 v46, 8, v21
	;; [unrolled: 1-line block ×3, first 2 shown]
	v_cndmask_b32_e64 v35, 21, v35, s4
	v_cmp_ne_u32_e64 s4, 0, v29
	v_cndmask_b32_e32 v40, 21, v40, vcc_lo
	v_cmp_ne_u32_e32 vcc_lo, 23, v29
	v_lshrrev_b32_e32 v48, 24, v21
	v_lshlrev_b16 v35, 8, v35
	v_cndmask_b32_e64 v43, 21, v19, s4
	v_cmp_ne_u32_e64 s4, 2, v29
	v_lshlrev_b16 v40, 8, v40
	v_lshrrev_b32_e32 v51, 24, v20
	v_lshrrev_b32_e32 v53, 16, v20
	v_or_b32_sdwa v41, v43, v41 dst_sel:DWORD dst_unused:UNUSED_PAD src0_sel:BYTE_0 src1_sel:DWORD
	v_cndmask_b32_e64 v42, 21, v42, s4
	v_lshrrev_b32_e32 v43, 24, v25
	v_lshrrev_b32_e32 v52, 16, v21
	v_cmp_ne_u32_e64 s4, 1, v26
	v_or_b32_sdwa v35, v42, v35 dst_sel:WORD_1 dst_unused:UNUSED_PAD src0_sel:BYTE_0 src1_sel:DWORD
	v_cndmask_b32_e32 v42, 21, v43, vcc_lo
	v_cmp_ne_u32_e32 vcc_lo, 20, v29
	v_lshrrev_b32_e32 v43, 16, v25
	v_or_b32_sdwa v35, v41, v35 dst_sel:DWORD dst_unused:UNUSED_PAD src0_sel:WORD_0 src1_sel:DWORD
	v_lshrrev_b32_e32 v41, 8, v23
	v_cndmask_b32_e32 v44, 21, v25, vcc_lo
	v_cmp_ne_u32_e32 vcc_lo, 22, v29
	v_lshlrev_b16 v42, 8, v42
	v_or_b32_sdwa v40, v44, v40 dst_sel:DWORD dst_unused:UNUSED_PAD src0_sel:BYTE_0 src1_sel:DWORD
	v_cndmask_b32_e32 v43, 21, v43, vcc_lo
	v_cmp_ne_u32_e32 vcc_lo, 17, v29
	v_lshrrev_b32_e32 v44, 24, v23
	v_or_b32_sdwa v42, v43, v42 dst_sel:WORD_1 dst_unused:UNUSED_PAD src0_sel:BYTE_0 src1_sel:DWORD
	v_cndmask_b32_e32 v41, 21, v41, vcc_lo
	v_cmp_ne_u32_e32 vcc_lo, 19, v29
	v_or_b32_sdwa v40, v40, v42 dst_sel:DWORD dst_unused:UNUSED_PAD src0_sel:WORD_0 src1_sel:DWORD
	v_lshlrev_b16 v41, 8, v41
	v_cndmask_b32_e32 v43, 21, v44, vcc_lo
	v_cmp_ne_u32_e32 vcc_lo, 16, v29
	v_lshrrev_b32_e32 v44, 16, v23
	v_lshrrev_b32_e32 v42, 8, v22
	v_lshlrev_b16 v43, 8, v43
	v_cndmask_b32_e32 v45, 21, v23, vcc_lo
	v_cmp_ne_u32_e32 vcc_lo, 18, v29
	v_or_b32_sdwa v41, v45, v41 dst_sel:DWORD dst_unused:UNUSED_PAD src0_sel:BYTE_0 src1_sel:DWORD
	v_cndmask_b32_e32 v44, 21, v44, vcc_lo
	v_cmp_ne_u32_e32 vcc_lo, 13, v29
	v_lshrrev_b32_e32 v45, 24, v22
	v_or_b32_sdwa v43, v44, v43 dst_sel:WORD_1 dst_unused:UNUSED_PAD src0_sel:BYTE_0 src1_sel:DWORD
	v_cndmask_b32_e32 v42, 21, v42, vcc_lo
	v_cmp_ne_u32_e32 vcc_lo, 15, v29
	v_lshlrev_b16 v42, 8, v42
	v_cndmask_b32_e32 v44, 21, v45, vcc_lo
	v_cmp_ne_u32_e32 vcc_lo, 12, v29
	v_lshlrev_b16 v44, 8, v44
	v_cndmask_b32_e32 v45, 21, v22, vcc_lo
	v_cmp_ne_u32_e32 vcc_lo, 9, v29
	v_or_b32_sdwa v42, v45, v42 dst_sel:DWORD dst_unused:UNUSED_PAD src0_sel:BYTE_0 src1_sel:DWORD
	v_cndmask_b32_e32 v46, 21, v46, vcc_lo
	v_cmp_ne_u32_e32 vcc_lo, 14, v29
	v_lshlrev_b16 v46, 8, v46
	v_cndmask_b32_e32 v47, 21, v47, vcc_lo
	v_cmp_ne_u32_e32 vcc_lo, 8, v29
	v_or_b32_sdwa v44, v47, v44 dst_sel:WORD_1 dst_unused:UNUSED_PAD src0_sel:BYTE_0 src1_sel:DWORD
	v_cndmask_b32_e32 v49, 21, v21, vcc_lo
	v_cmp_ne_u32_e32 vcc_lo, 11, v29
	v_or_b32_sdwa v45, v49, v46 dst_sel:DWORD dst_unused:UNUSED_PAD src0_sel:BYTE_0 src1_sel:DWORD
	v_cndmask_b32_e32 v48, 21, v48, vcc_lo
	v_cmp_ne_u32_e32 vcc_lo, 5, v29
	v_lshlrev_b16 v48, 8, v48
	v_cndmask_b32_e32 v50, 21, v50, vcc_lo
	v_cmp_ne_u32_e32 vcc_lo, 7, v29
	v_lshlrev_b16 v50, 8, v50
	;; [unrolled: 3-line block ×3, first 2 shown]
	v_cndmask_b32_e32 v54, 21, v20, vcc_lo
	v_cmp_ne_u32_e32 vcc_lo, 6, v29
	v_or_b32_sdwa v50, v54, v50 dst_sel:DWORD dst_unused:UNUSED_PAD src0_sel:BYTE_0 src1_sel:DWORD
	v_cndmask_b32_e32 v53, 21, v53, vcc_lo
	v_cmp_ne_u32_e32 vcc_lo, 10, v29
	v_or_b32_sdwa v51, v53, v51 dst_sel:WORD_1 dst_unused:UNUSED_PAD src0_sel:BYTE_0 src1_sel:DWORD
	v_cndmask_b32_e32 v29, 21, v52, vcc_lo
	v_cmp_eq_u32_e32 vcc_lo, 0, v34
	v_or_b32_sdwa v34, v41, v43 dst_sel:DWORD dst_unused:UNUSED_PAD src0_sel:WORD_0 src1_sel:DWORD
	v_or_b32_sdwa v46, v50, v51 dst_sel:DWORD dst_unused:UNUSED_PAD src0_sel:WORD_0 src1_sel:DWORD
	v_or_b32_sdwa v29, v29, v48 dst_sel:WORD_1 dst_unused:UNUSED_PAD src0_sel:BYTE_0 src1_sel:DWORD
	v_cndmask_b32_e32 v19, v35, v19, vcc_lo
	v_cndmask_b32_e32 v25, v40, v25, vcc_lo
	v_or_b32_sdwa v35, v42, v44 dst_sel:DWORD dst_unused:UNUSED_PAD src0_sel:WORD_0 src1_sel:DWORD
	v_cndmask_b32_e32 v20, v46, v20, vcc_lo
	v_or_b32_sdwa v29, v45, v29 dst_sel:DWORD dst_unused:UNUSED_PAD src0_sel:WORD_0 src1_sel:DWORD
	v_lshrrev_b32_e32 v41, 8, v19
	v_lshrrev_b32_e32 v42, 16, v19
	;; [unrolled: 1-line block ×3, first 2 shown]
	v_cndmask_b32_e32 v22, v35, v22, vcc_lo
	v_cndmask_b32_e32 v21, v29, v21, vcc_lo
	v_lshrrev_b32_e32 v29, 24, v19
	v_cndmask_b32_e64 v40, 22, v41, s4
	v_cmp_ne_u32_e64 s4, 3, v26
	v_cndmask_b32_e32 v23, v34, v23, vcc_lo
	v_cmp_ne_u32_e32 vcc_lo, 22, v26
	v_lshrrev_b32_e32 v45, 8, v22
	v_lshlrev_b16 v40, 8, v40
	v_cndmask_b32_e64 v29, 22, v29, s4
	v_cmp_ne_u32_e64 s4, 0, v26
	v_lshrrev_b32_e32 v44, 16, v23
	v_lshrrev_b32_e32 v46, 24, v22
	;; [unrolled: 1-line block ×3, first 2 shown]
	v_lshlrev_b16 v29, 8, v29
	v_cndmask_b32_e64 v41, 22, v19, s4
	v_cmp_ne_u32_e64 s4, 2, v26
	v_or_b32_sdwa v35, v41, v40 dst_sel:DWORD dst_unused:UNUSED_PAD src0_sel:BYTE_0 src1_sel:DWORD
	v_cndmask_b32_e64 v42, 22, v42, s4
	v_cmp_ne_u32_e64 s4, 21, v26
	v_lshrrev_b32_e32 v41, 24, v25
	v_or_b32_sdwa v29, v42, v29 dst_sel:WORD_1 dst_unused:UNUSED_PAD src0_sel:BYTE_0 src1_sel:DWORD
	v_cndmask_b32_e64 v40, 22, v43, s4
	v_cmp_ne_u32_e64 s4, 20, v26
	v_or_b32_sdwa v29, v35, v29 dst_sel:DWORD dst_unused:UNUSED_PAD src0_sel:WORD_0 src1_sel:DWORD
	v_lshlrev_b16 v40, 8, v40
	v_cndmask_b32_e64 v42, 22, v25, s4
	v_cmp_ne_u32_e64 s4, 23, v26
	v_lshrrev_b32_e32 v35, 16, v25
	v_or_b32_sdwa v34, v42, v40 dst_sel:DWORD dst_unused:UNUSED_PAD src0_sel:BYTE_0 src1_sel:DWORD
	v_cndmask_b32_e64 v41, 22, v41, s4
	v_cndmask_b32_e32 v35, 22, v35, vcc_lo
	v_cmp_ne_u32_e32 vcc_lo, 17, v26
	v_lshrrev_b32_e32 v42, 24, v23
	v_cmp_ne_u32_e64 s4, 10, v26
	v_lshlrev_b16 v40, 8, v41
	v_lshrrev_b32_e32 v41, 8, v23
	v_or_b32_sdwa v35, v35, v40 dst_sel:WORD_1 dst_unused:UNUSED_PAD src0_sel:BYTE_0 src1_sel:DWORD
	v_cndmask_b32_e32 v41, 22, v41, vcc_lo
	v_cmp_ne_u32_e32 vcc_lo, 19, v26
	v_or_b32_sdwa v34, v34, v35 dst_sel:DWORD dst_unused:UNUSED_PAD src0_sel:WORD_0 src1_sel:DWORD
	v_lshlrev_b16 v41, 8, v41
	v_cndmask_b32_e32 v42, 22, v42, vcc_lo
	v_cmp_ne_u32_e32 vcc_lo, 16, v26
	v_lshrrev_b32_e32 v35, 8, v21
	v_lshlrev_b16 v42, 8, v42
	v_cndmask_b32_e32 v43, 22, v23, vcc_lo
	v_cmp_ne_u32_e32 vcc_lo, 18, v26
	v_or_b32_sdwa v40, v43, v41 dst_sel:DWORD dst_unused:UNUSED_PAD src0_sel:BYTE_0 src1_sel:DWORD
	v_cndmask_b32_e32 v44, 22, v44, vcc_lo
	v_cmp_ne_u32_e32 vcc_lo, 13, v26
	v_or_b32_sdwa v41, v44, v42 dst_sel:WORD_1 dst_unused:UNUSED_PAD src0_sel:BYTE_0 src1_sel:DWORD
	v_cndmask_b32_e32 v45, 22, v45, vcc_lo
	v_cmp_ne_u32_e32 vcc_lo, 15, v26
	v_lshrrev_b32_e32 v44, 8, v20
	v_or_b32_sdwa v40, v40, v41 dst_sel:DWORD dst_unused:UNUSED_PAD src0_sel:WORD_0 src1_sel:DWORD
	v_lshlrev_b16 v45, 8, v45
	v_cndmask_b32_e32 v46, 22, v46, vcc_lo
	v_cmp_ne_u32_e32 vcc_lo, 12, v26
	v_lshrrev_b32_e32 v41, 24, v21
	v_lshlrev_b16 v46, 8, v46
	v_cndmask_b32_e32 v48, 22, v22, vcc_lo
	v_cmp_ne_u32_e32 vcc_lo, 14, v26
	v_or_b32_sdwa v42, v48, v45 dst_sel:DWORD dst_unused:UNUSED_PAD src0_sel:BYTE_0 src1_sel:DWORD
	v_cndmask_b32_e32 v47, 22, v47, vcc_lo
	v_cmp_ne_u32_e32 vcc_lo, 9, v26
	v_lshrrev_b32_e32 v45, 24, v20
	v_or_b32_sdwa v43, v47, v46 dst_sel:WORD_1 dst_unused:UNUSED_PAD src0_sel:BYTE_0 src1_sel:DWORD
	v_cndmask_b32_e32 v35, 22, v35, vcc_lo
	v_cmp_ne_u32_e32 vcc_lo, 11, v26
	v_lshrrev_b32_e32 v47, 16, v20
	v_lshrrev_b32_e32 v46, 16, v21
	v_or_b32_sdwa v42, v42, v43 dst_sel:DWORD dst_unused:UNUSED_PAD src0_sel:WORD_0 src1_sel:DWORD
	v_lshlrev_b16 v35, 8, v35
	v_cndmask_b32_e32 v41, 22, v41, vcc_lo
	v_cmp_ne_u32_e32 vcc_lo, 8, v26
	v_lshlrev_b16 v41, 8, v41
	v_cndmask_b32_e32 v43, 22, v21, vcc_lo
	v_cmp_ne_u32_e32 vcc_lo, 5, v26
	v_or_b32_sdwa v35, v43, v35 dst_sel:DWORD dst_unused:UNUSED_PAD src0_sel:BYTE_0 src1_sel:DWORD
	v_cndmask_b32_e32 v44, 22, v44, vcc_lo
	v_cmp_ne_u32_e32 vcc_lo, 7, v26
	v_lshlrev_b16 v44, 8, v44
	v_cndmask_b32_e32 v45, 22, v45, vcc_lo
	v_cmp_ne_u32_e32 vcc_lo, 4, v26
	v_lshlrev_b16 v45, 8, v45
	v_cndmask_b32_e32 v48, 22, v20, vcc_lo
	v_cmp_ne_u32_e32 vcc_lo, 6, v26
	v_cndmask_b32_e64 v26, 22, v46, s4
	v_cmp_ne_u32_e64 s4, 1, v24
	v_cndmask_b32_e32 v47, 22, v47, vcc_lo
	v_cmp_eq_u32_e32 vcc_lo, 0, v28
	v_or_b32_sdwa v28, v48, v44 dst_sel:DWORD dst_unused:UNUSED_PAD src0_sel:BYTE_0 src1_sel:DWORD
	v_or_b32_sdwa v26, v26, v41 dst_sel:WORD_1 dst_unused:UNUSED_PAD src0_sel:BYTE_0 src1_sel:DWORD
	v_cndmask_b32_e32 v19, v29, v19, vcc_lo
	v_or_b32_sdwa v29, v47, v45 dst_sel:WORD_1 dst_unused:UNUSED_PAD src0_sel:BYTE_0 src1_sel:DWORD
	v_or_b32_sdwa v26, v35, v26 dst_sel:DWORD dst_unused:UNUSED_PAD src0_sel:WORD_0 src1_sel:DWORD
	v_cndmask_b32_e32 v25, v34, v25, vcc_lo
	v_cndmask_b32_e32 v34, v42, v22, vcc_lo
	v_lshrrev_b32_e32 v43, 8, v19
	v_lshrrev_b32_e32 v41, 24, v19
	v_or_b32_sdwa v28, v28, v29 dst_sel:DWORD dst_unused:UNUSED_PAD src0_sel:WORD_0 src1_sel:DWORD
	v_cndmask_b32_e32 v26, v26, v21, vcc_lo
	v_lshrrev_b32_e32 v21, 8, v25
	v_cndmask_b32_e64 v29, 23, v43, s4
	v_cmp_ne_u32_e64 s4, 3, v24
	v_lshrrev_b32_e32 v43, 16, v19
	v_lshrrev_b32_e32 v22, 24, v25
	v_cndmask_b32_e32 v35, v40, v23, vcc_lo
	v_lshlrev_b16 v29, 8, v29
	v_cndmask_b32_e64 v41, 23, v41, s4
	v_cmp_ne_u32_e64 s4, 0, v24
	v_cndmask_b32_e32 v28, v28, v20, vcc_lo
	v_cmp_eq_u32_e32 vcc_lo, 0, v27
	v_lshrrev_b32_e32 v27, 8, v35
	v_lshlrev_b16 v41, 8, v41
	v_cndmask_b32_e64 v44, 23, v19, s4
	v_cmp_ne_u32_e64 s4, 2, v24
	v_lshrrev_b32_e32 v40, 24, v35
	v_lshrrev_b32_e32 v46, 16, v26
	;; [unrolled: 1-line block ×3, first 2 shown]
	v_or_b32_sdwa v20, v44, v29 dst_sel:DWORD dst_unused:UNUSED_PAD src0_sel:BYTE_0 src1_sel:DWORD
	v_cndmask_b32_e64 v43, 23, v43, s4
	v_cmp_ne_u32_e64 s4, 21, v24
	v_lshrrev_b32_e32 v48, 24, v28
	v_lshrrev_b32_e32 v49, 16, v28
	;; [unrolled: 1-line block ×3, first 2 shown]
	v_or_b32_sdwa v29, v43, v41 dst_sel:WORD_1 dst_unused:UNUSED_PAD src0_sel:BYTE_0 src1_sel:DWORD
	v_cndmask_b32_e64 v21, 23, v21, s4
	v_cmp_ne_u32_e64 s4, 23, v24
	v_lshrrev_b32_e32 v43, 24, v26
	v_or_b32_sdwa v20, v20, v29 dst_sel:DWORD dst_unused:UNUSED_PAD src0_sel:WORD_0 src1_sel:DWORD
	v_lshrrev_b32_e32 v29, 16, v25
	v_cndmask_b32_e64 v22, 23, v22, s4
	v_cmp_ne_u32_e64 s4, 20, v24
	v_lshlrev_b16 v21, 8, v21
	v_cndmask_b32_e32 v20, v20, v19, vcc_lo
	v_mov_b32_e32 v19, 0
	v_lshlrev_b16 v22, 8, v22
	v_cndmask_b32_e64 v23, 23, v25, s4
	v_cmp_ne_u32_e64 s4, 17, v24
	v_lshrrev_b32_e32 v62, 8, v20
	v_or_b32_sdwa v21, v23, v21 dst_sel:DWORD dst_unused:UNUSED_PAD src0_sel:BYTE_0 src1_sel:DWORD
	v_cndmask_b32_e64 v27, 23, v27, s4
	v_cmp_ne_u32_e64 s4, 22, v24
	v_lshrrev_b32_e32 v23, 8, v34
	v_lshlrev_b16 v27, 8, v27
	v_cndmask_b32_e64 v29, 23, v29, s4
	v_cmp_ne_u32_e64 s4, 16, v24
	v_or_b32_sdwa v22, v29, v22 dst_sel:WORD_1 dst_unused:UNUSED_PAD src0_sel:BYTE_0 src1_sel:DWORD
	v_cndmask_b32_e64 v41, 23, v35, s4
	v_cmp_ne_u32_e64 s4, 19, v24
	v_or_b32_sdwa v27, v41, v27 dst_sel:DWORD dst_unused:UNUSED_PAD src0_sel:BYTE_0 src1_sel:DWORD
	v_cndmask_b32_e64 v40, 23, v40, s4
	v_cmp_ne_u32_e64 s4, 13, v24
	v_lshrrev_b32_e32 v41, 24, v34
	v_lshlrev_b16 v29, 8, v40
	v_cndmask_b32_e64 v23, 23, v23, s4
	v_cmp_ne_u32_e64 s4, 12, v24
	v_lshrrev_b32_e32 v40, 16, v35
	v_lshlrev_b16 v23, 8, v23
	v_cndmask_b32_e64 v42, 23, v34, s4
	v_cmp_ne_u32_e64 s4, 15, v24
	v_or_b32_sdwa v23, v42, v23 dst_sel:DWORD dst_unused:UNUSED_PAD src0_sel:BYTE_0 src1_sel:DWORD
	v_cndmask_b32_e64 v41, 23, v41, s4
	v_cmp_ne_u32_e64 s4, 18, v24
	v_lshrrev_b32_e32 v42, 8, v26
	v_lshlrev_b16 v41, 8, v41
	v_cndmask_b32_e64 v40, 23, v40, s4
	v_cmp_ne_u32_e64 s4, 9, v24
	v_or_b32_sdwa v29, v40, v29 dst_sel:WORD_1 dst_unused:UNUSED_PAD src0_sel:BYTE_0 src1_sel:DWORD
	v_cndmask_b32_e64 v42, 23, v42, s4
	v_cmp_ne_u32_e64 s4, 11, v24
	v_or_b32_sdwa v40, v21, v22 dst_sel:DWORD dst_unused:UNUSED_PAD src0_sel:WORD_0 src1_sel:DWORD
	v_lshlrev_b16 v42, 8, v42
	v_cndmask_b32_e64 v43, 23, v43, s4
	v_cmp_ne_u32_e64 s4, 8, v24
	v_cndmask_b32_e32 v25, v40, v25, vcc_lo
	v_lshlrev_b16 v43, 8, v43
	v_cndmask_b32_e64 v45, 23, v26, s4
	v_cmp_ne_u32_e64 s4, 10, v24
	v_lshrrev_b32_e32 v73, 8, v25
	v_or_b32_sdwa v42, v45, v42 dst_sel:DWORD dst_unused:UNUSED_PAD src0_sel:BYTE_0 src1_sel:DWORD
	v_cndmask_b32_e64 v46, 23, v46, s4
	v_cmp_ne_u32_e64 s4, 5, v24
	v_or_b32_sdwa v43, v46, v43 dst_sel:WORD_1 dst_unused:UNUSED_PAD src0_sel:BYTE_0 src1_sel:DWORD
	v_cndmask_b32_e64 v47, 23, v47, s4
	v_cmp_ne_u32_e64 s4, 7, v24
	v_or_b32_sdwa v22, v42, v43 dst_sel:DWORD dst_unused:UNUSED_PAD src0_sel:WORD_0 src1_sel:DWORD
	v_lshlrev_b16 v47, 8, v47
	v_cndmask_b32_e64 v48, 23, v48, s4
	v_cmp_ne_u32_e64 s4, 4, v24
	v_cndmask_b32_e32 v22, v22, v26, vcc_lo
	v_lshlrev_b16 v48, 8, v48
	v_cndmask_b32_e64 v50, 23, v28, s4
	v_cmp_ne_u32_e64 s4, 6, v24
	v_lshrrev_b32_e32 v65, 16, v22
	v_lshrrev_b32_e32 v66, 8, v22
	v_cndmask_b32_e64 v49, 23, v49, s4
	v_cmp_ne_u32_e64 s4, 14, v24
	v_or_b32_sdwa v45, v49, v48 dst_sel:WORD_1 dst_unused:UNUSED_PAD src0_sel:BYTE_0 src1_sel:DWORD
	v_cndmask_b32_e64 v24, 23, v44, s4
	v_or_b32_sdwa v44, v50, v47 dst_sel:DWORD dst_unused:UNUSED_PAD src0_sel:BYTE_0 src1_sel:DWORD
	s_mov_b64 s[4:5], 0
	v_or_b32_sdwa v24, v24, v41 dst_sel:WORD_1 dst_unused:UNUSED_PAD src0_sel:BYTE_0 src1_sel:DWORD
	v_or_b32_sdwa v21, v44, v45 dst_sel:DWORD dst_unused:UNUSED_PAD src0_sel:WORD_0 src1_sel:DWORD
	v_or_b32_sdwa v23, v23, v24 dst_sel:DWORD dst_unused:UNUSED_PAD src0_sel:WORD_0 src1_sel:DWORD
	v_or_b32_sdwa v24, v27, v29 dst_sel:DWORD dst_unused:UNUSED_PAD src0_sel:WORD_0 src1_sel:DWORD
	v_cndmask_b32_e32 v21, v21, v28, vcc_lo
	v_cndmask_b32_e32 v23, v23, v34, vcc_lo
	;; [unrolled: 1-line block ×3, first 2 shown]
	v_lshrrev_b64 v[26:27], 24, v[20:21]
	v_lshrrev_b32_e32 v63, 16, v21
	v_lshrrev_b32_e32 v64, 8, v21
	v_lshrrev_b64 v[27:28], 24, v[22:23]
	v_lshrrev_b64 v[28:29], 24, v[24:25]
	v_lshrrev_b32_e32 v29, 24, v21
	v_lshrrev_b32_e32 v67, 24, v23
	;; [unrolled: 1-line block ×6, first 2 shown]
	s_branch .LBB1_318
.LBB1_316:                              ;   in Loop: Header=BB1_318 Depth=1
	s_or_b32 exec_lo, exec_lo, s11
	v_mov_b32_e32 v78, v75
	v_mov_b32_e32 v75, v77
.LBB1_317:                              ;   in Loop: Header=BB1_318 Depth=1
	s_or_b32 exec_lo, exec_lo, s10
	v_lshl_add_u32 v87, v75, 3, 0xd0
	v_lshl_add_u32 v78, v78, 3, 0xd0
	s_waitcnt vmcnt(20)
	v_add_f64 v[34:35], v[34:35], v[44:45]
	s_waitcnt vmcnt(12)
	v_add_f64 v[44:45], v[46:47], v[48:49]
	s_add_u32 s4, s4, 1
	s_clause 0xb
	buffer_load_dword v76, v87, s[0:3], 0 offen offset:68
	buffer_load_dword v77, v87, s[0:3], 0 offen offset:128
	;; [unrolled: 1-line block ×3, first 2 shown]
	buffer_load_dword v79, v87, s[0:3], 0 offen
	buffer_load_dword v82, v78, s[0:3], 0 offen offset:68
	buffer_load_dword v83, v78, s[0:3], 0 offen offset:128
	;; [unrolled: 1-line block ×5, first 2 shown]
	buffer_load_dword v85, v78, s[0:3], 0 offen
	buffer_load_dword v86, v78, s[0:3], 0 offen offset:4
	buffer_load_dword v78, v87, s[0:3], 0 offen offset:132
	s_addc_u32 s5, s5, 0
	v_cmp_eq_u64_e32 vcc_lo, s[4:5], v[18:19]
	s_or_b32 s9, vcc_lo, s9
	v_add_f64 v[34:35], v[34:35], v[42:43]
	s_waitcnt vmcnt(20)
	v_add_f64 v[42:43], v[52:53], v[50:51]
	s_waitcnt vmcnt(18)
	v_add_f64 v[44:45], v[44:45], v[58:59]
	v_add_f64 v[34:35], v[34:35], v[40:41]
	s_waitcnt vmcnt(12)
	v_add_f64 v[40:41], v[42:43], v[60:61]
	v_add_f64 v[42:43], v[44:45], v[54:55]
	v_fma_f64 v[34:35], 0x3fd00000, v[34:35], -v[0:1]
	v_add_f64 v[46:47], v[40:41], v[56:57]
	v_fma_f64 v[40:41], 0x3fd00000, v[42:43], -v[4:5]
	v_mul_f64 v[34:35], v[32:33], v[34:35]
	v_fma_f64 v[42:43], 0x3fd00000, v[46:47], -v[8:9]
	s_waitcnt vmcnt(5)
	v_add_f64 v[48:49], v[81:82], -v[4:5]
	s_waitcnt vmcnt(4)
	v_add_f64 v[50:51], v[79:80], -v[0:1]
	;; [unrolled: 2-line block ×4, first 2 shown]
	v_add_f64 v[44:45], v[75:76], -v[4:5]
	s_waitcnt vmcnt(0)
	v_add_f64 v[60:61], v[77:78], -v[8:9]
	v_mul_f64 v[54:55], v[6:7], v[48:49]
	v_fma_f64 v[56:57], -v[32:33], v[50:51], v[34:35]
	v_add_f64 v[75:76], v[42:43], v[46:47]
	v_fma_f64 v[87:88], v[32:33], v[50:51], v[34:35]
	v_mul_f64 v[77:78], v[32:33], v[52:53]
	v_mul_f64 v[44:45], v[6:7], v[44:45]
	v_fma_f64 v[79:80], v[32:33], v[52:53], v[34:35]
	v_fma_f64 v[52:53], v[32:33], v[52:53], -v[34:35]
	v_add_f64 v[83:84], v[42:43], v[60:61]
	v_add_f64 v[89:90], v[46:47], v[60:61]
	v_fma_f64 v[81:82], v[6:7], v[40:41], v[54:55]
	v_mul_f64 v[85:86], v[75:76], 0.5
	v_fma_f64 v[75:76], v[75:76], 0.5, 0
	v_fma_f64 v[91:92], v[32:33], v[50:51], -v[77:78]
	v_fma_f64 v[58:59], v[6:7], v[40:41], v[44:45]
	v_fma_f64 v[79:80], v[36:37], v[79:80], v[0:1]
	;; [unrolled: 1-line block ×4, first 2 shown]
	v_mul_f64 v[95:96], v[89:90], 0.5
	v_fma_f64 v[97:98], v[32:33], v[50:51], v[77:78]
	v_mul_f64 v[50:51], v[32:33], v[50:51]
	v_fma_f64 v[93:94], v[85:86], 0.5, v[8:9]
	v_fma_f64 v[75:76], v[83:84], 0.5, v[75:76]
	v_mul_f64 v[56:57], v[56:57], v[58:59]
	v_fma_f64 v[79:80], v[79:80], v[85:86], 0
	v_fma_f64 v[58:59], v[38:39], v[58:59], v[4:5]
	ds_write2_b64 v69, v[77:78], v[50:51] offset1:2
	ds_write2_b64 v69, v[54:55], v[44:45] offset0:10 offset1:12
	ds_write2_b64 v69, v[46:47], v[60:61] offset0:20 offset1:22
	v_fma_f64 v[75:76], v[89:90], 0.5, v[75:76]
	v_fma_f64 v[52:53], v[52:53], v[81:82], v[56:57]
	v_mul_f64 v[56:57], v[83:84], 0.5
	v_fma_f64 v[81:82], v[38:39], v[81:82], v[4:5]
	v_fma_f64 v[83:84], v[36:37], v[97:98], v[0:1]
	;; [unrolled: 1-line block ×3, first 2 shown]
	v_fma_f64 v[91:92], v[56:57], 0.5, v[8:9]
	v_fma_f64 v[81:82], v[81:82], v[85:86], 0
	v_fma_f64 v[85:86], v[85:86], v[93:94], 0
	;; [unrolled: 1-line block ×3, first 2 shown]
	v_fma_f64 v[93:94], v[95:96], 0.5, v[8:9]
	v_fma_f64 v[79:80], v[87:88], v[56:57], v[79:80]
	v_mul_f64 v[52:53], v[52:53], 0.5
	v_fma_f64 v[58:59], v[58:59], v[56:57], v[81:82]
	v_fma_f64 v[56:57], v[56:57], v[91:92], v[85:86]
	;; [unrolled: 1-line block ×3, first 2 shown]
	v_mul_f64 v[52:53], v[52:53], s[6:7]
	v_fma_f64 v[48:49], v[48:49], v[95:96], v[58:59]
	v_fma_f64 v[56:57], v[95:96], v[93:94], v[56:57]
	;; [unrolled: 1-line block ×10, first 2 shown]
	s_andn2_b32 exec_lo, exec_lo, s9
	s_cbranch_execz .LBB1_343
.LBB1_318:                              ; =>This Inner Loop Header: Depth=1
	s_cmp_eq_u32 s4, 1
	s_mov_b32 s10, exec_lo
	s_cselect_b32 vcc_lo, -1, 0
	s_cmp_eq_u32 s4, 2
	v_cndmask_b32_e32 v34, v20, v62, vcc_lo
	s_cselect_b32 vcc_lo, -1, 0
	s_cmp_eq_u32 s4, 3
                                        ; implicit-def: $vgpr79
                                        ; implicit-def: $vgpr41
                                        ; implicit-def: $vgpr76
                                        ; implicit-def: $vgpr40
                                        ; implicit-def: $vgpr77
                                        ; implicit-def: $vgpr42
                                        ; implicit-def: $vgpr35
	v_cndmask_b32_sdwa v34, v34, v20, vcc_lo dst_sel:DWORD dst_unused:UNUSED_PAD src0_sel:DWORD src1_sel:WORD_1
	s_cselect_b32 vcc_lo, -1, 0
	s_cmp_eq_u32 s4, 4
	v_cndmask_b32_e32 v34, v34, v26, vcc_lo
	s_cselect_b32 vcc_lo, -1, 0
	s_cmp_eq_u32 s4, 5
	v_cndmask_b32_e32 v34, v34, v21, vcc_lo
	;; [unrolled: 3-line block ×19, first 2 shown]
	s_cselect_b32 vcc_lo, -1, 0
	s_cmp_eq_u32 s4, 23
	v_cndmask_b32_sdwa v34, v34, v25, vcc_lo dst_sel:DWORD dst_unused:UNUSED_PAD src0_sel:DWORD src1_sel:WORD_1
	s_cselect_b32 vcc_lo, -1, 0
	v_cndmask_b32_sdwa v78, v34, v25, vcc_lo dst_sel:DWORD dst_unused:UNUSED_PAD src0_sel:DWORD src1_sel:BYTE_3
	v_bfe_u32 v75, v78, 2, 6
	v_cmpx_lt_i32_e32 1, v75
	s_xor_b32 s10, exec_lo, s10
	s_cbranch_execz .LBB1_330
; %bb.319:                              ;   in Loop: Header=BB1_318 Depth=1
	s_mov_b32 s11, exec_lo
                                        ; implicit-def: $vgpr79
                                        ; implicit-def: $vgpr41
                                        ; implicit-def: $vgpr76
                                        ; implicit-def: $vgpr40
                                        ; implicit-def: $vgpr77
                                        ; implicit-def: $vgpr42
                                        ; implicit-def: $vgpr35
	v_cmpx_lt_i32_e32 2, v75
	s_xor_b32 s11, exec_lo, s11
	s_cbranch_execz .LBB1_327
; %bb.320:                              ;   in Loop: Header=BB1_318 Depth=1
	s_mov_b32 s12, exec_lo
                                        ; implicit-def: $vgpr79
                                        ; implicit-def: $vgpr41
                                        ; implicit-def: $vgpr76
                                        ; implicit-def: $vgpr40
                                        ; implicit-def: $vgpr77
                                        ; implicit-def: $vgpr42
                                        ; implicit-def: $vgpr35
	v_cmpx_lt_i32_e32 3, v75
	s_xor_b32 s12, exec_lo, s12
	s_cbranch_execz .LBB1_324
; %bb.321:                              ;   in Loop: Header=BB1_318 Depth=1
	s_mov_b32 s13, exec_lo
	v_cmpx_ne_u32_e32 4, v75
	s_xor_b32 s13, exec_lo, s13
	s_or_saveexec_b32 s13, s13
	v_mov_b32_e32 v75, 4
	v_mov_b32_e32 v77, 6
	;; [unrolled: 1-line block ×8, first 2 shown]
	s_xor_b32 exec_lo, exec_lo, s13
	s_cbranch_execz .LBB1_323
; %bb.322:                              ;   in Loop: Header=BB1_318 Depth=1
	v_mov_b32_e32 v75, 0
	v_mov_b32_e32 v77, 1
	;; [unrolled: 1-line block ×8, first 2 shown]
.LBB1_323:                              ;   in Loop: Header=BB1_318 Depth=1
	s_or_b32 exec_lo, exec_lo, s13
.LBB1_324:                              ;   in Loop: Header=BB1_318 Depth=1
	s_andn2_saveexec_b32 s12, s12
	s_cbranch_execz .LBB1_326
; %bb.325:                              ;   in Loop: Header=BB1_318 Depth=1
	v_mov_b32_e32 v75, 2
	v_mov_b32_e32 v77, 3
	;; [unrolled: 1-line block ×8, first 2 shown]
.LBB1_326:                              ;   in Loop: Header=BB1_318 Depth=1
	s_or_b32 exec_lo, exec_lo, s12
.LBB1_327:                              ;   in Loop: Header=BB1_318 Depth=1
	s_andn2_saveexec_b32 s11, s11
	s_cbranch_execz .LBB1_329
; %bb.328:                              ;   in Loop: Header=BB1_318 Depth=1
	v_mov_b32_e32 v75, 0
	v_mov_b32_e32 v77, 4
	;; [unrolled: 1-line block ×8, first 2 shown]
.LBB1_329:                              ;   in Loop: Header=BB1_318 Depth=1
	s_or_b32 exec_lo, exec_lo, s11
.LBB1_330:                              ;   in Loop: Header=BB1_318 Depth=1
	s_andn2_saveexec_b32 s10, s10
	s_cbranch_execz .LBB1_334
; %bb.331:                              ;   in Loop: Header=BB1_318 Depth=1
	v_mov_b32_e32 v77, 2
	v_mov_b32_e32 v76, 6
	;; [unrolled: 1-line block ×7, first 2 shown]
	s_mov_b32 s11, exec_lo
	v_cmpx_lt_i32_e32 0, v75
	s_cbranch_execz .LBB1_333
; %bb.332:                              ;   in Loop: Header=BB1_318 Depth=1
	v_mov_b32_e32 v75, 1
	v_mov_b32_e32 v77, 5
	;; [unrolled: 1-line block ×8, first 2 shown]
.LBB1_333:                              ;   in Loop: Header=BB1_318 Depth=1
	s_or_b32 exec_lo, exec_lo, s11
.LBB1_334:                              ;   in Loop: Header=BB1_318 Depth=1
	s_or_b32 exec_lo, exec_lo, s10
	v_lshl_add_u32 v52, v75, 3, 0xd0
	v_lshl_add_u32 v50, v77, 3, 0xd0
	;; [unrolled: 1-line block ×4, first 2 shown]
	s_clause 0x17
	buffer_load_dword v34, v35, s[0:3], 0 offen
	buffer_load_dword v35, v35, s[0:3], 0 offen offset:4
	buffer_load_dword v44, v42, s[0:3], 0 offen
	buffer_load_dword v45, v42, s[0:3], 0 offen offset:4
	;; [unrolled: 2-line block ×4, first 2 shown]
	buffer_load_dword v46, v52, s[0:3], 0 offen offset:64
	buffer_load_dword v47, v52, s[0:3], 0 offen offset:68
	;; [unrolled: 1-line block ×16, first 2 shown]
	v_and_b32_sdwa v80, v78, v74 dst_sel:DWORD dst_unused:UNUSED_PAD src0_sel:BYTE_0 src1_sel:DWORD
	s_mov_b32 s10, exec_lo
                                        ; implicit-def: $vgpr78
	v_cmpx_lt_i32_e32 1, v80
	s_xor_b32 s10, exec_lo, s10
	s_cbranch_execz .LBB1_340
; %bb.335:                              ;   in Loop: Header=BB1_318 Depth=1
	s_mov_b32 s11, exec_lo
	v_cmpx_lt_i32_e32 2, v80
	s_xor_b32 s11, exec_lo, s11
; %bb.336:                              ;   in Loop: Header=BB1_318 Depth=1
                                        ; implicit-def: $vgpr76
; %bb.337:                              ;   in Loop: Header=BB1_318 Depth=1
	s_or_saveexec_b32 s11, s11
	v_mov_b32_e32 v78, v79
	s_xor_b32 exec_lo, exec_lo, s11
; %bb.338:                              ;   in Loop: Header=BB1_318 Depth=1
	v_mov_b32_e32 v78, v76
	v_mov_b32_e32 v75, v79
; %bb.339:                              ;   in Loop: Header=BB1_318 Depth=1
	s_or_b32 exec_lo, exec_lo, s11
                                        ; implicit-def: $vgpr77
                                        ; implicit-def: $vgpr76
                                        ; implicit-def: $vgpr80
.LBB1_340:                              ;   in Loop: Header=BB1_318 Depth=1
	s_andn2_saveexec_b32 s10, s10
	s_cbranch_execz .LBB1_317
; %bb.341:                              ;   in Loop: Header=BB1_318 Depth=1
	s_mov_b32 s11, exec_lo
	v_cmpx_eq_u32_e32 1, v80
	s_cbranch_execz .LBB1_316
; %bb.342:                              ;   in Loop: Header=BB1_318 Depth=1
	v_mov_b32_e32 v75, v77
	v_mov_b32_e32 v77, v76
	s_branch .LBB1_316
.LBB1_343:
	s_or_b32 exec_lo, exec_lo, s9
	v_mul_f64 v[0:1], v[6:7], v[40:41]
	ds_write2_b64 v69, v[34:35], v[0:1] offset0:1 offset1:11
	ds_write_b64 v69, v[42:43] offset:168
.LBB1_344:
	s_or_b32 exec_lo, exec_lo, s8
	v_lshlrev_b64 v[0:1], 5, v[30:31]
	v_add_co_u32 v0, vcc_lo, s16, v0
	v_add_co_ci_u32_e64 v1, null, s17, v1, vcc_lo
	global_store_dwordx4 v[0:1], v[14:17], off
	global_store_dwordx4 v[0:1], v[10:13], off offset:16
.LBB1_345:
	s_endpgm
	.section	.rodata,"a",@progbits
	.p2align	6, 0x0
	.amdhsa_kernel _ZN8rajaperf17lambda_hip_forallILm64EZNS_4apps13INTSC_HEXRECT17runHipVariantImplILm64EEEvNS_9VariantIDEEUllE_EEvllT0_
		.amdhsa_group_segment_fixed_size 15872
		.amdhsa_private_segment_fixed_size 416
		.amdhsa_kernarg_size 88
		.amdhsa_user_sgpr_count 6
		.amdhsa_user_sgpr_private_segment_buffer 1
		.amdhsa_user_sgpr_dispatch_ptr 0
		.amdhsa_user_sgpr_queue_ptr 0
		.amdhsa_user_sgpr_kernarg_segment_ptr 1
		.amdhsa_user_sgpr_dispatch_id 0
		.amdhsa_user_sgpr_flat_scratch_init 0
		.amdhsa_user_sgpr_private_segment_size 0
		.amdhsa_wavefront_size32 1
		.amdhsa_uses_dynamic_stack 0
		.amdhsa_system_sgpr_private_segment_wavefront_offset 1
		.amdhsa_system_sgpr_workgroup_id_x 1
		.amdhsa_system_sgpr_workgroup_id_y 0
		.amdhsa_system_sgpr_workgroup_id_z 0
		.amdhsa_system_sgpr_workgroup_info 0
		.amdhsa_system_vgpr_workitem_id 0
		.amdhsa_next_free_vgpr 193
		.amdhsa_next_free_sgpr 32
		.amdhsa_reserve_vcc 1
		.amdhsa_reserve_flat_scratch 0
		.amdhsa_float_round_mode_32 0
		.amdhsa_float_round_mode_16_64 0
		.amdhsa_float_denorm_mode_32 3
		.amdhsa_float_denorm_mode_16_64 3
		.amdhsa_dx10_clamp 1
		.amdhsa_ieee_mode 1
		.amdhsa_fp16_overflow 0
		.amdhsa_workgroup_processor_mode 1
		.amdhsa_memory_ordered 1
		.amdhsa_forward_progress 1
		.amdhsa_shared_vgpr_count 0
		.amdhsa_exception_fp_ieee_invalid_op 0
		.amdhsa_exception_fp_denorm_src 0
		.amdhsa_exception_fp_ieee_div_zero 0
		.amdhsa_exception_fp_ieee_overflow 0
		.amdhsa_exception_fp_ieee_underflow 0
		.amdhsa_exception_fp_ieee_inexact 0
		.amdhsa_exception_int_div_zero 0
	.end_amdhsa_kernel
	.section	.text._ZN8rajaperf17lambda_hip_forallILm64EZNS_4apps13INTSC_HEXRECT17runHipVariantImplILm64EEEvNS_9VariantIDEEUllE_EEvllT0_,"axG",@progbits,_ZN8rajaperf17lambda_hip_forallILm64EZNS_4apps13INTSC_HEXRECT17runHipVariantImplILm64EEEvNS_9VariantIDEEUllE_EEvllT0_,comdat
.Lfunc_end1:
	.size	_ZN8rajaperf17lambda_hip_forallILm64EZNS_4apps13INTSC_HEXRECT17runHipVariantImplILm64EEEvNS_9VariantIDEEUllE_EEvllT0_, .Lfunc_end1-_ZN8rajaperf17lambda_hip_forallILm64EZNS_4apps13INTSC_HEXRECT17runHipVariantImplILm64EEEvNS_9VariantIDEEUllE_EEvllT0_
                                        ; -- End function
	.set _ZN8rajaperf17lambda_hip_forallILm64EZNS_4apps13INTSC_HEXRECT17runHipVariantImplILm64EEEvNS_9VariantIDEEUllE_EEvllT0_.num_vgpr, 127
	.set _ZN8rajaperf17lambda_hip_forallILm64EZNS_4apps13INTSC_HEXRECT17runHipVariantImplILm64EEEvNS_9VariantIDEEUllE_EEvllT0_.num_agpr, 0
	.set _ZN8rajaperf17lambda_hip_forallILm64EZNS_4apps13INTSC_HEXRECT17runHipVariantImplILm64EEEvNS_9VariantIDEEUllE_EEvllT0_.numbered_sgpr, 32
	.set _ZN8rajaperf17lambda_hip_forallILm64EZNS_4apps13INTSC_HEXRECT17runHipVariantImplILm64EEEvNS_9VariantIDEEUllE_EEvllT0_.num_named_barrier, 0
	.set _ZN8rajaperf17lambda_hip_forallILm64EZNS_4apps13INTSC_HEXRECT17runHipVariantImplILm64EEEvNS_9VariantIDEEUllE_EEvllT0_.private_seg_size, 416
	.set _ZN8rajaperf17lambda_hip_forallILm64EZNS_4apps13INTSC_HEXRECT17runHipVariantImplILm64EEEvNS_9VariantIDEEUllE_EEvllT0_.uses_vcc, 1
	.set _ZN8rajaperf17lambda_hip_forallILm64EZNS_4apps13INTSC_HEXRECT17runHipVariantImplILm64EEEvNS_9VariantIDEEUllE_EEvllT0_.uses_flat_scratch, 0
	.set _ZN8rajaperf17lambda_hip_forallILm64EZNS_4apps13INTSC_HEXRECT17runHipVariantImplILm64EEEvNS_9VariantIDEEUllE_EEvllT0_.has_dyn_sized_stack, 0
	.set _ZN8rajaperf17lambda_hip_forallILm64EZNS_4apps13INTSC_HEXRECT17runHipVariantImplILm64EEEvNS_9VariantIDEEUllE_EEvllT0_.has_recursion, 0
	.set _ZN8rajaperf17lambda_hip_forallILm64EZNS_4apps13INTSC_HEXRECT17runHipVariantImplILm64EEEvNS_9VariantIDEEUllE_EEvllT0_.has_indirect_call, 0
	.section	.AMDGPU.csdata,"",@progbits
; Kernel info:
; codeLenInByte = 66564
; TotalNumSgprs: 34
; NumVgprs: 127
; ScratchSize: 416
; MemoryBound: 0
; FloatMode: 240
; IeeeMode: 1
; LDSByteSize: 15872 bytes/workgroup (compile time only)
; SGPRBlocks: 0
; VGPRBlocks: 24
; NumSGPRsForWavesPerEU: 34
; NumVGPRsForWavesPerEU: 193
; Occupancy: 4
; WaveLimiterHint : 1
; COMPUTE_PGM_RSRC2:SCRATCH_EN: 1
; COMPUTE_PGM_RSRC2:USER_SGPR: 6
; COMPUTE_PGM_RSRC2:TRAP_HANDLER: 0
; COMPUTE_PGM_RSRC2:TGID_X_EN: 1
; COMPUTE_PGM_RSRC2:TGID_Y_EN: 0
; COMPUTE_PGM_RSRC2:TGID_Z_EN: 0
; COMPUTE_PGM_RSRC2:TIDIG_COMP_CNT: 0
	.section	.text._ZN4RAJA6policy3hip4impl18forallp_hip_kernelINS1_8hip_execINS_17iteration_mapping6DirectENS_3hip11IndexGlobalILNS_9named_dimE0ELi64ELi0EEENS7_40AvoidDeviceMaxThreadOccupancyConcretizerINS7_34FractionOffsetOccupancyConcretizerINS_8FractionImLm1ELm1EEELln1EEEEELb1EEENS_9Iterators16numeric_iteratorIllPlEEZN8rajaperf4apps13INTSC_HEXRECT17runHipVariantImplILm64EEEvNSM_9VariantIDEEUllE0_lNS_4expt15ForallParamPackIJEEES6_SA_TnNSt9enable_ifIXaasr3std10is_base_ofINS5_10DirectBaseET4_EE5valuegtsrT5_10block_sizeLi0EEmE4typeELm64EEEvT1_T0_T2_T3_,"axG",@progbits,_ZN4RAJA6policy3hip4impl18forallp_hip_kernelINS1_8hip_execINS_17iteration_mapping6DirectENS_3hip11IndexGlobalILNS_9named_dimE0ELi64ELi0EEENS7_40AvoidDeviceMaxThreadOccupancyConcretizerINS7_34FractionOffsetOccupancyConcretizerINS_8FractionImLm1ELm1EEELln1EEEEELb1EEENS_9Iterators16numeric_iteratorIllPlEEZN8rajaperf4apps13INTSC_HEXRECT17runHipVariantImplILm64EEEvNSM_9VariantIDEEUllE0_lNS_4expt15ForallParamPackIJEEES6_SA_TnNSt9enable_ifIXaasr3std10is_base_ofINS5_10DirectBaseET4_EE5valuegtsrT5_10block_sizeLi0EEmE4typeELm64EEEvT1_T0_T2_T3_,comdat
	.protected	_ZN4RAJA6policy3hip4impl18forallp_hip_kernelINS1_8hip_execINS_17iteration_mapping6DirectENS_3hip11IndexGlobalILNS_9named_dimE0ELi64ELi0EEENS7_40AvoidDeviceMaxThreadOccupancyConcretizerINS7_34FractionOffsetOccupancyConcretizerINS_8FractionImLm1ELm1EEELln1EEEEELb1EEENS_9Iterators16numeric_iteratorIllPlEEZN8rajaperf4apps13INTSC_HEXRECT17runHipVariantImplILm64EEEvNSM_9VariantIDEEUllE0_lNS_4expt15ForallParamPackIJEEES6_SA_TnNSt9enable_ifIXaasr3std10is_base_ofINS5_10DirectBaseET4_EE5valuegtsrT5_10block_sizeLi0EEmE4typeELm64EEEvT1_T0_T2_T3_ ; -- Begin function _ZN4RAJA6policy3hip4impl18forallp_hip_kernelINS1_8hip_execINS_17iteration_mapping6DirectENS_3hip11IndexGlobalILNS_9named_dimE0ELi64ELi0EEENS7_40AvoidDeviceMaxThreadOccupancyConcretizerINS7_34FractionOffsetOccupancyConcretizerINS_8FractionImLm1ELm1EEELln1EEEEELb1EEENS_9Iterators16numeric_iteratorIllPlEEZN8rajaperf4apps13INTSC_HEXRECT17runHipVariantImplILm64EEEvNSM_9VariantIDEEUllE0_lNS_4expt15ForallParamPackIJEEES6_SA_TnNSt9enable_ifIXaasr3std10is_base_ofINS5_10DirectBaseET4_EE5valuegtsrT5_10block_sizeLi0EEmE4typeELm64EEEvT1_T0_T2_T3_
	.globl	_ZN4RAJA6policy3hip4impl18forallp_hip_kernelINS1_8hip_execINS_17iteration_mapping6DirectENS_3hip11IndexGlobalILNS_9named_dimE0ELi64ELi0EEENS7_40AvoidDeviceMaxThreadOccupancyConcretizerINS7_34FractionOffsetOccupancyConcretizerINS_8FractionImLm1ELm1EEELln1EEEEELb1EEENS_9Iterators16numeric_iteratorIllPlEEZN8rajaperf4apps13INTSC_HEXRECT17runHipVariantImplILm64EEEvNSM_9VariantIDEEUllE0_lNS_4expt15ForallParamPackIJEEES6_SA_TnNSt9enable_ifIXaasr3std10is_base_ofINS5_10DirectBaseET4_EE5valuegtsrT5_10block_sizeLi0EEmE4typeELm64EEEvT1_T0_T2_T3_
	.p2align	8
	.type	_ZN4RAJA6policy3hip4impl18forallp_hip_kernelINS1_8hip_execINS_17iteration_mapping6DirectENS_3hip11IndexGlobalILNS_9named_dimE0ELi64ELi0EEENS7_40AvoidDeviceMaxThreadOccupancyConcretizerINS7_34FractionOffsetOccupancyConcretizerINS_8FractionImLm1ELm1EEELln1EEEEELb1EEENS_9Iterators16numeric_iteratorIllPlEEZN8rajaperf4apps13INTSC_HEXRECT17runHipVariantImplILm64EEEvNSM_9VariantIDEEUllE0_lNS_4expt15ForallParamPackIJEEES6_SA_TnNSt9enable_ifIXaasr3std10is_base_ofINS5_10DirectBaseET4_EE5valuegtsrT5_10block_sizeLi0EEmE4typeELm64EEEvT1_T0_T2_T3_,@function
_ZN4RAJA6policy3hip4impl18forallp_hip_kernelINS1_8hip_execINS_17iteration_mapping6DirectENS_3hip11IndexGlobalILNS_9named_dimE0ELi64ELi0EEENS7_40AvoidDeviceMaxThreadOccupancyConcretizerINS7_34FractionOffsetOccupancyConcretizerINS_8FractionImLm1ELm1EEELln1EEEEELb1EEENS_9Iterators16numeric_iteratorIllPlEEZN8rajaperf4apps13INTSC_HEXRECT17runHipVariantImplILm64EEEvNSM_9VariantIDEEUllE0_lNS_4expt15ForallParamPackIJEEES6_SA_TnNSt9enable_ifIXaasr3std10is_base_ofINS5_10DirectBaseET4_EE5valuegtsrT5_10block_sizeLi0EEmE4typeELm64EEEvT1_T0_T2_T3_: ; @_ZN4RAJA6policy3hip4impl18forallp_hip_kernelINS1_8hip_execINS_17iteration_mapping6DirectENS_3hip11IndexGlobalILNS_9named_dimE0ELi64ELi0EEENS7_40AvoidDeviceMaxThreadOccupancyConcretizerINS7_34FractionOffsetOccupancyConcretizerINS_8FractionImLm1ELm1EEELln1EEEEELb1EEENS_9Iterators16numeric_iteratorIllPlEEZN8rajaperf4apps13INTSC_HEXRECT17runHipVariantImplILm64EEEvNSM_9VariantIDEEUllE0_lNS_4expt15ForallParamPackIJEEES6_SA_TnNSt9enable_ifIXaasr3std10is_base_ofINS5_10DirectBaseET4_EE5valuegtsrT5_10block_sizeLi0EEmE4typeELm64EEEvT1_T0_T2_T3_
; %bb.0:
	s_load_dwordx4 s[8:11], s[4:5], 0x48
	s_add_u32 s0, s0, s7
	s_mov_b32 s7, 0
	s_addc_u32 s1, s1, 0
	s_lshl_b64 s[6:7], s[6:7], 6
	v_or_b32_e32 v0, s6, v0
	v_mov_b32_e32 v1, s7
	s_mov_b32 s6, exec_lo
	s_waitcnt lgkmcnt(0)
	v_cmpx_gt_i64_e64 s[10:11], v[0:1]
	s_cbranch_execz .LBB2_345
; %bb.1:
	s_load_dwordx2 s[6:7], s[4:5], 0x0
	v_add_co_u32 v30, vcc_lo, v0, s8
	v_add_co_ci_u32_e64 v31, null, s9, v1, vcc_lo
	s_waitcnt lgkmcnt(0)
	v_cmp_gt_i64_e32 vcc_lo, s[6:7], v[30:31]
	s_and_b32 exec_lo, exec_lo, vcc_lo
	s_cbranch_execz .LBB2_345
; %bb.2:
	s_load_dwordx16 s[16:31], s[4:5], 0x8
	v_lshlrev_b64 v[8:9], 2, v[30:31]
	s_movk_i32 s15, 0xf8
	s_waitcnt lgkmcnt(0)
	v_add_co_u32 v0, vcc_lo, s18, v8
	v_add_co_ci_u32_e64 v1, null, s19, v9, vcc_lo
	s_mov_b64 s[18:19], 0
	global_load_dword v0, v[0:1], off
	s_waitcnt vmcnt(0)
	v_lshlrev_b32_e32 v0, 3, v0
	v_ashrrev_i32_e32 v1, 31, v0
	v_lshlrev_b64 v[0:1], 2, v[0:1]
	v_add_co_u32 v4, vcc_lo, s20, v0
	v_add_co_ci_u32_e64 v5, null, s21, v1, vcc_lo
	v_add_co_u32 v8, vcc_lo, s30, v8
	v_add_co_ci_u32_e64 v9, null, s31, v9, vcc_lo
	s_clause 0x1
	global_load_dwordx4 v[0:3], v[4:5], off
	global_load_dwordx4 v[4:7], v[4:5], off offset:16
	s_movk_i32 s20, 0xe8
	s_or_b32 s21, 0xd0, 8
	global_load_dword v54, v[8:9], off
	s_waitcnt vmcnt(2)
	v_ashrrev_i32_e32 v9, 31, v0
	v_mov_b32_e32 v8, v0
	v_ashrrev_i32_e32 v11, 31, v1
	v_mov_b32_e32 v10, v1
	;; [unrolled: 2-line block ×4, first 2 shown]
	s_waitcnt vmcnt(1)
	v_ashrrev_i32_e32 v3, 31, v4
	v_mov_b32_e32 v2, v4
	v_ashrrev_i32_e32 v15, 31, v5
	v_mov_b32_e32 v14, v5
	;; [unrolled: 2-line block ×4, first 2 shown]
	v_lshlrev_b64 v[6:7], 3, v[8:9]
	v_lshlrev_b64 v[8:9], 3, v[10:11]
	;; [unrolled: 1-line block ×6, first 2 shown]
	v_add_co_u32 v16, vcc_lo, s22, v6
	v_add_co_ci_u32_e64 v17, null, s23, v7, vcc_lo
	v_add_co_u32 v18, vcc_lo, s24, v6
	v_add_co_ci_u32_e64 v19, null, s25, v7, vcc_lo
	;; [unrolled: 2-line block ×8, first 2 shown]
	v_add_co_u32 v0, vcc_lo, s26, v0
	v_lshlrev_b64 v[2:3], 3, v[2:3]
	v_add_co_ci_u32_e64 v1, null, s27, v1, vcc_lo
	v_add_co_u32 v28, vcc_lo, s22, v10
	v_add_co_ci_u32_e64 v29, null, s23, v11, vcc_lo
	v_add_co_u32 v32, vcc_lo, s24, v10
	;; [unrolled: 2-line block ×6, first 2 shown]
	v_lshlrev_b64 v[4:5], 3, v[4:5]
	v_add_co_ci_u32_e64 v3, null, s27, v3, vcc_lo
	v_add_co_u32 v38, vcc_lo, s22, v12
	v_add_co_ci_u32_e64 v39, null, s23, v13, vcc_lo
	v_add_co_u32 v40, vcc_lo, s24, v12
	;; [unrolled: 2-line block ×9, first 2 shown]
	v_add_co_ci_u32_e64 v15, null, s27, v15, vcc_lo
	global_load_dwordx2 v[16:17], v[16:17], off
	global_load_dwordx2 v[18:19], v[18:19], off
	;; [unrolled: 1-line block ×24, first 2 shown]
	s_clause 0x1
	s_load_dwordx2 s[8:9], s[28:29], 0x4
	s_load_dwordx4 s[4:7], s[28:29], 0x10
	s_waitcnt vmcnt(24)
	v_sub_nc_u32_e32 v52, 0, v54
	s_movk_i32 s22, 0x100
	s_movk_i32 s23, 0xe0
	;; [unrolled: 1-line block ×4, first 2 shown]
	v_max_i32_e32 v55, v54, v52
	s_mov_b32 s26, 0
	s_waitcnt lgkmcnt(0)
	s_abs_i32 s10, s9
	v_cvt_f32_u32_e32 v50, s10
	s_sub_i32 s11, 0, s10
	v_rcp_iflag_f32_e32 v50, v50
	v_mul_f32_e32 v50, 0x4f7ffffe, v50
	v_cvt_u32_f32_e32 v50, v50
	v_mul_lo_u32 v51, s11, v50
	s_abs_i32 s11, s8
	v_cvt_f32_u32_e32 v52, s11
	v_mul_hi_u32 v51, v50, v51
	v_rcp_iflag_f32_e32 v52, v52
	v_add_nc_u32_e32 v50, v50, v51
	v_mul_f32_e32 v52, 0x4f7ffffe, v52
	v_mul_hi_u32 v50, v55, v50
	v_cvt_u32_f32_e32 v52, v52
	v_mul_lo_u32 v51, v50, s10
	v_add_nc_u32_e32 v53, 1, v50
	v_sub_nc_u32_e32 v51, v55, v51
	v_subrev_nc_u32_e32 v56, s10, v51
	v_cmp_le_u32_e32 vcc_lo, s10, v51
	v_cndmask_b32_e32 v50, v50, v53, vcc_lo
	v_cndmask_b32_e32 v51, v51, v56, vcc_lo
	v_xor_b32_e32 v53, s9, v54
	v_add_nc_u32_e32 v56, 1, v50
	v_cmp_le_u32_e32 vcc_lo, s10, v51
	v_ashrrev_i32_e32 v53, 31, v53
	s_sub_i32 s10, 0, s11
	v_mul_lo_u32 v51, s10, v52
	v_cndmask_b32_e32 v50, v50, v56, vcc_lo
	v_xor_b32_e32 v50, v50, v53
	v_mul_hi_u32 v51, v52, v51
	v_sub_nc_u32_e32 v50, v50, v53
	v_sub_nc_u32_e32 v53, 0, v50
	v_add_nc_u32_e32 v51, v52, v51
	v_max_i32_e32 v52, v50, v53
	v_ashrrev_i32_e32 v53, 31, v50
	v_mul_lo_u32 v50, v50, s9
	v_mul_hi_u32 v51, v52, v51
	v_sub_nc_u32_e32 v50, v54, v50
	v_mul_lo_u32 v51, v51, s11
	v_sub_nc_u32_e32 v51, v52, v51
	v_subrev_nc_u32_e32 v52, s11, v51
	v_cmp_le_u32_e32 vcc_lo, s11, v51
	v_cndmask_b32_e32 v51, v51, v52, vcc_lo
	v_subrev_nc_u32_e32 v52, s11, v51
	v_cmp_le_u32_e32 vcc_lo, s11, v51
	s_load_dwordx2 s[10:11], s[28:29], 0x20
	s_waitcnt vmcnt(23)
	buffer_store_dword v17, off, s[0:3], 0 offset:212
	buffer_store_dword v16, off, s[0:3], 0 offset:208
	s_waitcnt vmcnt(22)
	buffer_store_dword v19, off, s[0:3], 0 offset:276
	buffer_store_dword v18, off, s[0:3], 0 offset:272
	;; [unrolled: 3-line block ×24, first 2 shown]
	v_cndmask_b32_e32 v51, v51, v52, vcc_lo
	v_mov_b32_e32 v38, 0
	v_xor_b32_e32 v51, v51, v53
	v_sub_nc_u32_e32 v52, v51, v53
	v_ashrrev_i32_e32 v51, 31, v50
	v_ashrrev_i32_e32 v53, 31, v52
	v_lshlrev_b64 v[50:51], 3, v[50:51]
	v_lshlrev_b64 v[52:53], 3, v[52:53]
	s_waitcnt lgkmcnt(0)
	v_add_co_u32 v50, vcc_lo, s10, v50
	v_add_co_ci_u32_e64 v51, null, s11, v51, vcc_lo
	v_add_co_u32 v52, vcc_lo, s6, v52
	v_add_co_ci_u32_e64 v53, null, s7, v53, vcc_lo
	flat_load_dwordx4 v[0:3], v[50:51]
	flat_load_dwordx4 v[4:7], v[52:53]
	s_mul_i32 s6, s9, s8
	s_abs_i32 s7, s6
	v_cvt_f32_u32_e32 v8, s7
	s_sub_i32 s8, 0, s7
	v_rcp_iflag_f32_e32 v8, v8
	v_mul_f32_e32 v8, 0x4f7ffffe, v8
	v_cvt_u32_f32_e32 v8, v8
	v_mul_lo_u32 v9, s8, v8
	v_mul_hi_u32 v9, v8, v9
	v_add_nc_u32_e32 v8, v8, v9
	v_mul_hi_u32 v8, v55, v8
	v_mul_lo_u32 v9, v8, s7
	v_add_nc_u32_e32 v10, 1, v8
	v_sub_nc_u32_e32 v9, v55, v9
	v_subrev_nc_u32_e32 v11, s7, v9
	v_cmp_le_u32_e32 vcc_lo, s7, v9
	v_cndmask_b32_e32 v8, v8, v10, vcc_lo
	v_cndmask_b32_e32 v9, v9, v11, vcc_lo
	v_xor_b32_e32 v10, s6, v54
	v_add_nc_u32_e32 v11, 1, v8
	v_cmp_le_u32_e32 vcc_lo, s7, v9
	v_ashrrev_i32_e32 v10, 31, v10
	v_cndmask_b32_e32 v8, v8, v11, vcc_lo
	v_xor_b32_e32 v8, v8, v10
	v_sub_nc_u32_e32 v8, v8, v10
	v_ashrrev_i32_e32 v9, 31, v8
	v_lshlrev_b64 v[8:9], 3, v[8:9]
	v_add_co_u32 v8, vcc_lo, s4, v8
	v_add_co_ci_u32_e64 v9, null, s5, v9, vcc_lo
	s_mov_b32 s4, 0x174d6123
	s_mov_b32 s5, 0x2f52f8ac
	flat_load_dwordx4 v[8:11], v[8:9]
	s_waitcnt vmcnt(2) lgkmcnt(2)
	v_add_f64 v[12:13], v[2:3], -v[0:1]
	s_waitcnt vmcnt(1) lgkmcnt(1)
	v_add_f64 v[14:15], v[6:7], -v[4:5]
	v_mul_f64 v[2:3], v[12:13], v[14:15]
	v_fma_f64 v[6:7], v[2:3], v[2:3], s[4:5]
	v_div_scale_f64 v[16:17], null, v[6:7], v[6:7], v[2:3]
	v_div_scale_f64 v[22:23], vcc_lo, v[2:3], v[6:7], v[2:3]
	v_rcp_f64_e32 v[18:19], v[16:17]
	v_fma_f64 v[20:21], -v[16:17], v[18:19], 1.0
	v_fma_f64 v[18:19], v[18:19], v[20:21], v[18:19]
	v_fma_f64 v[20:21], -v[16:17], v[18:19], 1.0
	v_fma_f64 v[18:19], v[18:19], v[20:21], v[18:19]
	v_mul_f64 v[20:21], v[22:23], v[18:19]
	v_fma_f64 v[16:17], -v[16:17], v[20:21], v[22:23]
	v_div_fmas_f64 v[16:17], v[16:17], v[18:19], v[20:21]
	s_waitcnt vmcnt(0) lgkmcnt(0)
	v_cmp_gt_f64_e32 vcc_lo, v[10:11], v[8:9]
	v_div_fixup_f64 v[6:7], v[16:17], v[6:7], v[2:3]
	v_add_f64 v[16:17], v[10:11], -v[8:9]
	v_mov_b32_e32 v10, 0
	buffer_store_dword v10, off, s[0:3], 0 offset:8
	buffer_store_dword v10, off, s[0:3], 0 offset:4
	buffer_store_dword v10, off, s[0:3], 0
	v_mul_f64 v[32:33], v[14:15], v[6:7]
	v_mul_f64 v[6:7], v[12:13], v[6:7]
	v_cndmask_b32_e32 v35, 0, v17, vcc_lo
	v_cndmask_b32_e32 v34, 0, v16, vcc_lo
	s_branch .LBB2_6
.LBB2_3:                                ;   in Loop: Header=BB2_6 Depth=1
	s_or_b32 exec_lo, exec_lo, s10
.LBB2_4:                                ;   in Loop: Header=BB2_6 Depth=1
	s_or_b32 exec_lo, exec_lo, s9
	buffer_load_dword v11, v10, s[0:3], 0 offen
	s_waitcnt vmcnt(0)
	v_lshl_or_b32 v11, 8, s26, v11
	buffer_store_dword v11, v10, s[0:3], 0 offen
.LBB2_5:                                ;   in Loop: Header=BB2_6 Depth=1
	s_or_b32 exec_lo, exec_lo, s27
	s_add_i32 s26, s26, 4
	s_add_u32 s18, s18, 1
	s_addc_u32 s19, s19, 0
	s_cmp_lg_u64 s[18:19], 6
	s_cbranch_scc0 .LBB2_124
.LBB2_6:                                ; =>This Inner Loop Header: Depth=1
	s_cmp_lt_i32 s18, 2
	s_cbranch_scc1 .LBB2_13
; %bb.7:                                ;   in Loop: Header=BB2_6 Depth=1
	s_cmp_gt_i32 s18, 2
	s_cbranch_scc0 .LBB2_14
; %bb.8:                                ;   in Loop: Header=BB2_6 Depth=1
	s_mov_b32 s5, -1
	s_mov_b32 s8, 0
	s_cmp_gt_i32 s18, 3
	s_mov_b32 s4, 0
	s_cbranch_scc0 .LBB2_11
; %bb.9:                                ;   in Loop: Header=BB2_6 Depth=1
	s_cmp_eq_u32 s18, 4
	s_mov_b32 s4, -1
	s_cbranch_scc0 .LBB2_16
; %bb.10:                               ;   in Loop: Header=BB2_6 Depth=1
	s_mov_b32 s4, 0
	s_mov_b32 s5, 0
.LBB2_11:                               ;   in Loop: Header=BB2_6 Depth=1
	s_and_b32 vcc_lo, exec_lo, s5
	s_cbranch_vccz .LBB2_17
; %bb.12:                               ;   in Loop: Header=BB2_6 Depth=1
	s_mov_b32 s8, 2
	s_mov_b32 s9, 3
	;; [unrolled: 1-line block ×8, first 2 shown]
	s_branch .LBB2_18
.LBB2_13:                               ;   in Loop: Header=BB2_6 Depth=1
	s_mov_b32 s4, 0
                                        ; implicit-def: $sgpr6
                                        ; implicit-def: $sgpr5
                                        ; implicit-def: $sgpr7
                                        ; implicit-def: $sgpr11
                                        ; implicit-def: $sgpr9
                                        ; implicit-def: $sgpr12
                                        ; implicit-def: $sgpr8
                                        ; implicit-def: $sgpr10
	s_cbranch_execnz .LBB2_19
	s_branch .LBB2_23
.LBB2_14:                               ;   in Loop: Header=BB2_6 Depth=1
	s_mov_b32 s4, 0
                                        ; implicit-def: $sgpr6
                                        ; implicit-def: $sgpr5
                                        ; implicit-def: $sgpr7
                                        ; implicit-def: $sgpr11
                                        ; implicit-def: $sgpr9
                                        ; implicit-def: $sgpr12
                                        ; implicit-def: $sgpr8
                                        ; implicit-def: $sgpr10
	s_cbranch_execz .LBB2_18
; %bb.15:                               ;   in Loop: Header=BB2_6 Depth=1
	s_movk_i32 s10, 0xd0
	s_mov_b32 s8, 0
	s_mov_b32 s9, 4
	;; [unrolled: 1-line block ×7, first 2 shown]
	s_branch .LBB2_23
.LBB2_16:                               ;   in Loop: Header=BB2_6 Depth=1
.LBB2_17:                               ;   in Loop: Header=BB2_6 Depth=1
	s_movk_i32 s10, 0xd0
	s_mov_b32 s9, 1
	s_mov_b32 s7, 3
	;; [unrolled: 1-line block ×6, first 2 shown]
.LBB2_18:                               ;   in Loop: Header=BB2_6 Depth=1
	s_branch .LBB2_23
.LBB2_19:                               ;   in Loop: Header=BB2_6 Depth=1
	s_cmp_gt_i32 s18, 0
	s_mov_b32 s5, -1
	s_cbranch_scc0 .LBB2_21
; %bb.20:                               ;   in Loop: Header=BB2_6 Depth=1
	s_mov_b32 s5, 0
.LBB2_21:                               ;   in Loop: Header=BB2_6 Depth=1
	s_andn2_b32 vcc_lo, exec_lo, s5
	s_mov_b32 s8, 1
	s_cbranch_vccnz .LBB2_44
; %bb.22:                               ;   in Loop: Header=BB2_6 Depth=1
	s_cmp_lg_u32 s18, 0
	s_movk_i32 s10, 0xd0
	s_mov_b32 s9, 2
	s_mov_b32 s7, 6
	;; [unrolled: 1-line block ×3, first 2 shown]
	s_cselect_b32 s4, -1, 0
	s_mov_b32 s5, s24
	s_mov_b32 s11, s22
	;; [unrolled: 1-line block ×4, first 2 shown]
.LBB2_23:                               ;   in Loop: Header=BB2_6 Depth=1
	s_and_b32 vcc_lo, exec_lo, s4
	s_cbranch_vccz .LBB2_25
.LBB2_24:                               ;   in Loop: Header=BB2_6 Depth=1
	s_mov_b32 s6, 5
	s_mov_b32 s7, 7
	;; [unrolled: 1-line block ×8, first 2 shown]
.LBB2_25:                               ;   in Loop: Header=BB2_6 Depth=1
	v_mov_b32_e32 v11, s10
	v_mov_b32_e32 v17, s12
	;; [unrolled: 1-line block ×4, first 2 shown]
	s_clause 0x7
	buffer_load_dword v10, v11, s[0:3], 0 offen
	buffer_load_dword v11, v11, s[0:3], 0 offen offset:4
	buffer_load_dword v16, v17, s[0:3], 0 offen
	buffer_load_dword v17, v17, s[0:3], 0 offen offset:4
	;; [unrolled: 2-line block ×4, first 2 shown]
	s_waitcnt vmcnt(4)
	v_add_f64 v[22:23], v[10:11], v[16:17]
	v_add_f64 v[10:11], v[10:11], -v[0:1]
	s_waitcnt vmcnt(2)
	v_add_f64 v[18:19], v[22:23], v[18:19]
	v_add_f64 v[22:23], v[16:17], -v[0:1]
	s_waitcnt vmcnt(0)
	v_add_f64 v[18:19], v[18:19], v[20:21]
	v_fma_f64 v[20:21], 0x3fd00000, v[18:19], -v[0:1]
	v_mul_f64 v[18:19], v[32:33], v[10:11]
	v_mul_f64 v[10:11], v[32:33], v[22:23]
	;; [unrolled: 1-line block ×3, first 2 shown]
	v_cmp_ngt_f64_e32 vcc_lo, 0, v[18:19]
	v_cmp_ngt_f64_e64 s5, 0, v[10:11]
	v_cmp_ngt_f64_e64 s4, 0, v[16:17]
	s_or_b32 s4, vcc_lo, s4
	s_or_b32 s4, s4, s5
	s_and_saveexec_b32 s27, s4
	s_cbranch_execz .LBB2_35
; %bb.26:                               ;   in Loop: Header=BB2_6 Depth=1
	v_cmp_nle_f64_e32 vcc_lo, 1.0, v[18:19]
	v_cmp_nle_f64_e64 s4, 1.0, v[16:17]
	v_cmp_nle_f64_e64 s5, 1.0, v[10:11]
	s_or_b32 s4, vcc_lo, s4
	s_or_b32 s4, s4, s5
	s_and_b32 exec_lo, exec_lo, s4
	s_cbranch_execz .LBB2_35
; %bb.27:                               ;   in Loop: Header=BB2_6 Depth=1
	s_lshl_b32 s4, s8, 3
	s_lshl_b32 s5, s9, 3
	s_add_i32 s9, s4, 0xd0
	s_add_i32 s8, s5, 0xd0
	v_mov_b32_e32 v21, s9
	v_mov_b32_e32 v23, s8
	s_lshl_b32 s4, s7, 3
	s_clause 0x3
	buffer_load_dword v20, v21, s[0:3], 0 offen offset:64
	buffer_load_dword v21, v21, s[0:3], 0 offen offset:68
	;; [unrolled: 1-line block ×4, first 2 shown]
	s_add_i32 s7, s4, 0xd0
	s_lshl_b32 s4, s6, 3
	v_mov_b32_e32 v25, s7
	s_clause 0x1
	buffer_load_dword v24, v25, s[0:3], 0 offen offset:64
	buffer_load_dword v25, v25, s[0:3], 0 offen offset:68
	s_add_i32 s6, s4, 0xd0
	v_mov_b32_e32 v27, s6
	s_clause 0x1
	buffer_load_dword v26, v27, s[0:3], 0 offen offset:64
	buffer_load_dword v27, v27, s[0:3], 0 offen offset:68
	s_waitcnt vmcnt(4)
	v_add_f64 v[28:29], v[20:21], v[22:23]
	v_add_f64 v[20:21], v[20:21], -v[4:5]
	s_waitcnt vmcnt(2)
	v_add_f64 v[24:25], v[28:29], v[24:25]
	v_add_f64 v[28:29], v[22:23], -v[4:5]
	s_waitcnt vmcnt(0)
	v_add_f64 v[24:25], v[24:25], v[26:27]
	v_fma_f64 v[26:27], 0x3fd00000, v[24:25], -v[4:5]
	v_mul_f64 v[24:25], v[6:7], v[20:21]
	v_mul_f64 v[20:21], v[6:7], v[28:29]
	;; [unrolled: 1-line block ×3, first 2 shown]
	v_cmp_ngt_f64_e32 vcc_lo, 0, v[24:25]
	v_cmp_ngt_f64_e64 s5, 0, v[20:21]
	v_cmp_ngt_f64_e64 s4, 0, v[22:23]
	s_or_b32 s4, vcc_lo, s4
	s_or_b32 s4, s4, s5
	s_and_b32 exec_lo, exec_lo, s4
	s_cbranch_execz .LBB2_35
; %bb.28:                               ;   in Loop: Header=BB2_6 Depth=1
	v_cmp_nle_f64_e32 vcc_lo, 1.0, v[24:25]
	v_cmp_nle_f64_e64 s4, 1.0, v[22:23]
	v_cmp_nle_f64_e64 s5, 1.0, v[20:21]
	s_or_b32 s4, vcc_lo, s4
	s_or_b32 s4, s4, s5
	s_and_b32 exec_lo, exec_lo, s4
	s_cbranch_execz .LBB2_35
; %bb.29:                               ;   in Loop: Header=BB2_6 Depth=1
	v_mov_b32_e32 v27, s9
	v_mov_b32_e32 v28, s8
	;; [unrolled: 1-line block ×4, first 2 shown]
	s_clause 0x7
	buffer_load_dword v26, v27, s[0:3], 0 offen offset:128
	buffer_load_dword v27, v27, s[0:3], 0 offen offset:132
	;; [unrolled: 1-line block ×8, first 2 shown]
	s_waitcnt vmcnt(4)
	v_add_f64 v[41:42], v[26:27], v[39:40]
	s_waitcnt vmcnt(2)
	v_add_f64 v[28:29], v[41:42], v[28:29]
	;; [unrolled: 2-line block ×3, first 2 shown]
	v_add_f64 v[36:37], v[26:27], -v[8:9]
	v_add_f64 v[26:27], v[39:40], -v[8:9]
	v_fma_f64 v[28:29], 0x3fd00000, v[28:29], -v[8:9]
	v_cmp_ngt_f64_e32 vcc_lo, 0, v[36:37]
	v_cmp_ngt_f64_e64 s5, 0, v[26:27]
	v_cmp_ngt_f64_e64 s4, 0, v[28:29]
	s_or_b32 s4, vcc_lo, s4
	s_or_b32 s4, s4, s5
	s_and_b32 exec_lo, exec_lo, s4
	s_cbranch_execz .LBB2_35
; %bb.30:                               ;   in Loop: Header=BB2_6 Depth=1
	v_cmp_le_f64_e32 vcc_lo, 0, v[18:19]
	v_cmp_le_f64_e64 s4, 0, v[16:17]
	v_cmp_le_f64_e64 s5, 0, v[10:11]
	v_cmp_gt_f64_e64 s6, 1.0, v[18:19]
	v_cmp_gt_f64_e64 s7, 1.0, v[16:17]
	;; [unrolled: 1-line block ×3, first 2 shown]
	v_cmp_le_f64_e64 s9, 0, v[24:25]
	v_cmp_le_f64_e64 s10, 0, v[22:23]
	;; [unrolled: 1-line block ×3, first 2 shown]
	v_cmp_gt_f64_e64 s12, 1.0, v[24:25]
	v_cmp_gt_f64_e64 s13, 1.0, v[22:23]
	;; [unrolled: 1-line block ×3, first 2 shown]
	v_mov_b32_e32 v10, 8
	s_and_b32 s4, vcc_lo, s4
	s_and_b32 s4, s4, s5
	s_and_b32 s4, s6, s4
	;; [unrolled: 1-line block ×10, first 2 shown]
	s_and_saveexec_b32 s9, s4
	s_cbranch_execz .LBB2_34
; %bb.31:                               ;   in Loop: Header=BB2_6 Depth=1
	v_cmp_nge_f64_e32 vcc_lo, v[36:37], v[34:35]
	v_cmp_nge_f64_e64 s4, v[28:29], v[34:35]
	v_cmp_nge_f64_e64 s5, v[26:27], v[34:35]
	v_mov_b32_e32 v10, 4
	s_or_b32 s4, vcc_lo, s4
	s_or_b32 s4, s4, s5
	s_and_saveexec_b32 s10, s4
	s_cbranch_execz .LBB2_33
; %bb.32:                               ;   in Loop: Header=BB2_6 Depth=1
	v_cmp_le_f64_e32 vcc_lo, 0, v[36:37]
	v_cmp_le_f64_e64 s4, 0, v[28:29]
	v_cmp_le_f64_e64 s5, 0, v[26:27]
	v_cmp_lt_f64_e64 s6, v[36:37], v[34:35]
	v_cmp_lt_f64_e64 s7, v[28:29], v[34:35]
	;; [unrolled: 1-line block ×3, first 2 shown]
	s_and_b32 s4, vcc_lo, s4
	s_and_b32 s4, s4, s5
	s_and_b32 s4, s6, s4
	;; [unrolled: 1-line block ×3, first 2 shown]
	s_and_b32 vcc_lo, s4, s8
	v_cndmask_b32_e32 v10, 8, v38, vcc_lo
.LBB2_33:                               ;   in Loop: Header=BB2_6 Depth=1
	s_or_b32 exec_lo, exec_lo, s10
.LBB2_34:                               ;   in Loop: Header=BB2_6 Depth=1
	s_or_b32 exec_lo, exec_lo, s9
	buffer_load_dword v11, v10, s[0:3], 0 offen
	s_waitcnt vmcnt(0)
	v_lshl_or_b32 v11, 1, s26, v11
	buffer_store_dword v11, v10, s[0:3], 0 offen
.LBB2_35:                               ;   in Loop: Header=BB2_6 Depth=1
	s_or_b32 exec_lo, exec_lo, s27
	s_cmp_lt_i32 s18, 2
	s_cbranch_scc1 .LBB2_43
; %bb.36:                               ;   in Loop: Header=BB2_6 Depth=1
	s_cmp_gt_i32 s18, 2
	s_cbranch_scc0 .LBB2_45
; %bb.37:                               ;   in Loop: Header=BB2_6 Depth=1
	s_mov_b32 s5, -1
	s_mov_b32 s8, 0
	s_cmp_gt_i32 s18, 3
	s_mov_b32 s4, 0
	s_cbranch_scc0 .LBB2_41
; %bb.38:                               ;   in Loop: Header=BB2_6 Depth=1
	s_cmp_eq_u32 s18, 4
	s_mov_b32 s4, -1
	s_cbranch_scc0 .LBB2_40
; %bb.39:                               ;   in Loop: Header=BB2_6 Depth=1
	s_mov_b32 s4, 0
.LBB2_40:                               ;   in Loop: Header=BB2_6 Depth=1
	s_mov_b32 s5, 0
.LBB2_41:                               ;   in Loop: Header=BB2_6 Depth=1
	s_and_b32 vcc_lo, exec_lo, s5
	s_cbranch_vccz .LBB2_47
; %bb.42:                               ;   in Loop: Header=BB2_6 Depth=1
	s_mov_b32 s8, 2
	s_mov_b32 s9, 3
	;; [unrolled: 1-line block ×8, first 2 shown]
	s_branch .LBB2_48
.LBB2_43:                               ;   in Loop: Header=BB2_6 Depth=1
	s_mov_b32 s4, 0
                                        ; implicit-def: $sgpr6
                                        ; implicit-def: $sgpr5
                                        ; implicit-def: $sgpr7
                                        ; implicit-def: $sgpr11
                                        ; implicit-def: $sgpr9
                                        ; implicit-def: $sgpr12
                                        ; implicit-def: $sgpr8
                                        ; implicit-def: $sgpr10
	s_cbranch_execnz .LBB2_49
	s_branch .LBB2_53
.LBB2_44:                               ;   in Loop: Header=BB2_6 Depth=1
	s_mov_b32 s9, 5
	s_mov_b32 s7, 7
	;; [unrolled: 1-line block ×7, first 2 shown]
	s_and_b32 vcc_lo, exec_lo, s4
	s_cbranch_vccnz .LBB2_24
	s_branch .LBB2_25
.LBB2_45:                               ;   in Loop: Header=BB2_6 Depth=1
	s_mov_b32 s4, 0
                                        ; implicit-def: $sgpr6
                                        ; implicit-def: $sgpr5
                                        ; implicit-def: $sgpr7
                                        ; implicit-def: $sgpr11
                                        ; implicit-def: $sgpr9
                                        ; implicit-def: $sgpr12
                                        ; implicit-def: $sgpr8
                                        ; implicit-def: $sgpr10
	s_cbranch_execz .LBB2_48
; %bb.46:                               ;   in Loop: Header=BB2_6 Depth=1
	s_movk_i32 s10, 0xd0
	s_mov_b32 s8, 0
	s_mov_b32 s9, 4
	;; [unrolled: 1-line block ×7, first 2 shown]
	s_branch .LBB2_53
.LBB2_47:                               ;   in Loop: Header=BB2_6 Depth=1
	s_movk_i32 s10, 0xd0
	s_mov_b32 s9, 1
	s_mov_b32 s7, 3
	;; [unrolled: 1-line block ×6, first 2 shown]
.LBB2_48:                               ;   in Loop: Header=BB2_6 Depth=1
	s_branch .LBB2_53
.LBB2_49:                               ;   in Loop: Header=BB2_6 Depth=1
	s_cmp_gt_i32 s18, 0
	s_mov_b32 s5, -1
	s_cbranch_scc0 .LBB2_51
; %bb.50:                               ;   in Loop: Header=BB2_6 Depth=1
	s_mov_b32 s5, 0
.LBB2_51:                               ;   in Loop: Header=BB2_6 Depth=1
	s_andn2_b32 vcc_lo, exec_lo, s5
	s_mov_b32 s8, 1
	s_cbranch_vccnz .LBB2_74
; %bb.52:                               ;   in Loop: Header=BB2_6 Depth=1
	s_cmp_lg_u32 s18, 0
	s_movk_i32 s10, 0xd0
	s_mov_b32 s9, 2
	s_mov_b32 s7, 6
	;; [unrolled: 1-line block ×3, first 2 shown]
	s_cselect_b32 s4, -1, 0
	s_mov_b32 s5, s24
	s_mov_b32 s11, s22
	;; [unrolled: 1-line block ×4, first 2 shown]
.LBB2_53:                               ;   in Loop: Header=BB2_6 Depth=1
	s_and_b32 vcc_lo, exec_lo, s4
	s_cbranch_vccz .LBB2_55
.LBB2_54:                               ;   in Loop: Header=BB2_6 Depth=1
	s_mov_b32 s6, 5
	s_mov_b32 s7, 7
	;; [unrolled: 1-line block ×8, first 2 shown]
.LBB2_55:                               ;   in Loop: Header=BB2_6 Depth=1
	v_mov_b32_e32 v11, s10
	v_mov_b32_e32 v17, s12
	;; [unrolled: 1-line block ×4, first 2 shown]
	s_clause 0x7
	buffer_load_dword v10, v11, s[0:3], 0 offen
	buffer_load_dword v11, v11, s[0:3], 0 offen offset:4
	buffer_load_dword v16, v17, s[0:3], 0 offen
	buffer_load_dword v17, v17, s[0:3], 0 offen offset:4
	;; [unrolled: 2-line block ×4, first 2 shown]
	s_waitcnt vmcnt(4)
	v_add_f64 v[10:11], v[10:11], v[16:17]
	v_add_f64 v[16:17], v[16:17], -v[0:1]
	s_waitcnt vmcnt(2)
	v_add_f64 v[10:11], v[10:11], v[18:19]
	s_waitcnt vmcnt(0)
	v_add_f64 v[10:11], v[10:11], v[20:21]
	v_add_f64 v[20:21], v[18:19], -v[0:1]
	v_mul_f64 v[18:19], v[32:33], v[16:17]
	v_fma_f64 v[10:11], 0x3fd00000, v[10:11], -v[0:1]
	v_cmp_ngt_f64_e32 vcc_lo, 0, v[18:19]
	v_mul_f64 v[16:17], v[32:33], v[10:11]
	v_mul_f64 v[10:11], v[32:33], v[20:21]
	v_cmp_ngt_f64_e64 s4, 0, v[16:17]
	v_cmp_ngt_f64_e64 s5, 0, v[10:11]
	s_or_b32 s4, vcc_lo, s4
	s_or_b32 s4, s4, s5
	s_and_saveexec_b32 s27, s4
	s_cbranch_execz .LBB2_65
; %bb.56:                               ;   in Loop: Header=BB2_6 Depth=1
	v_cmp_nle_f64_e32 vcc_lo, 1.0, v[18:19]
	v_cmp_nle_f64_e64 s4, 1.0, v[16:17]
	v_cmp_nle_f64_e64 s5, 1.0, v[10:11]
	s_or_b32 s4, vcc_lo, s4
	s_or_b32 s4, s4, s5
	s_and_b32 exec_lo, exec_lo, s4
	s_cbranch_execz .LBB2_65
; %bb.57:                               ;   in Loop: Header=BB2_6 Depth=1
	s_lshl_b32 s4, s8, 3
	s_lshl_b32 s5, s9, 3
	s_add_i32 s9, s4, 0xd0
	s_add_i32 s8, s5, 0xd0
	v_mov_b32_e32 v21, s9
	v_mov_b32_e32 v23, s8
	s_lshl_b32 s4, s7, 3
	s_clause 0x3
	buffer_load_dword v20, v21, s[0:3], 0 offen offset:64
	buffer_load_dword v21, v21, s[0:3], 0 offen offset:68
	;; [unrolled: 1-line block ×4, first 2 shown]
	s_add_i32 s7, s4, 0xd0
	s_lshl_b32 s4, s6, 3
	v_mov_b32_e32 v25, s7
	s_clause 0x1
	buffer_load_dword v24, v25, s[0:3], 0 offen offset:64
	buffer_load_dword v25, v25, s[0:3], 0 offen offset:68
	s_add_i32 s6, s4, 0xd0
	v_mov_b32_e32 v27, s6
	s_clause 0x1
	buffer_load_dword v26, v27, s[0:3], 0 offen offset:64
	buffer_load_dword v27, v27, s[0:3], 0 offen offset:68
	s_waitcnt vmcnt(4)
	v_add_f64 v[20:21], v[20:21], v[22:23]
	v_add_f64 v[22:23], v[22:23], -v[4:5]
	s_waitcnt vmcnt(2)
	v_add_f64 v[20:21], v[20:21], v[24:25]
	s_waitcnt vmcnt(0)
	v_add_f64 v[20:21], v[20:21], v[26:27]
	v_add_f64 v[26:27], v[24:25], -v[4:5]
	v_mul_f64 v[24:25], v[6:7], v[22:23]
	v_fma_f64 v[20:21], 0x3fd00000, v[20:21], -v[4:5]
	v_cmp_ngt_f64_e32 vcc_lo, 0, v[24:25]
	v_mul_f64 v[22:23], v[6:7], v[20:21]
	v_mul_f64 v[20:21], v[6:7], v[26:27]
	v_cmp_ngt_f64_e64 s4, 0, v[22:23]
	v_cmp_ngt_f64_e64 s5, 0, v[20:21]
	s_or_b32 s4, vcc_lo, s4
	s_or_b32 s4, s4, s5
	s_and_b32 exec_lo, exec_lo, s4
	s_cbranch_execz .LBB2_65
; %bb.58:                               ;   in Loop: Header=BB2_6 Depth=1
	v_cmp_nle_f64_e32 vcc_lo, 1.0, v[24:25]
	v_cmp_nle_f64_e64 s4, 1.0, v[22:23]
	v_cmp_nle_f64_e64 s5, 1.0, v[20:21]
	s_or_b32 s4, vcc_lo, s4
	s_or_b32 s4, s4, s5
	s_and_b32 exec_lo, exec_lo, s4
	s_cbranch_execz .LBB2_65
; %bb.59:                               ;   in Loop: Header=BB2_6 Depth=1
	v_mov_b32_e32 v27, s9
	v_mov_b32_e32 v29, s8
	;; [unrolled: 1-line block ×4, first 2 shown]
	s_clause 0x7
	buffer_load_dword v26, v27, s[0:3], 0 offen offset:128
	buffer_load_dword v27, v27, s[0:3], 0 offen offset:132
	;; [unrolled: 1-line block ×8, first 2 shown]
	s_waitcnt vmcnt(4)
	v_add_f64 v[26:27], v[26:27], v[28:29]
	s_waitcnt vmcnt(2)
	v_add_f64 v[26:27], v[26:27], v[39:40]
	;; [unrolled: 2-line block ×3, first 2 shown]
	v_add_f64 v[36:37], v[28:29], -v[8:9]
	v_fma_f64 v[28:29], 0x3fd00000, v[26:27], -v[8:9]
	v_add_f64 v[26:27], v[39:40], -v[8:9]
	v_cmp_ngt_f64_e32 vcc_lo, 0, v[36:37]
	v_cmp_ngt_f64_e64 s4, 0, v[28:29]
	v_cmp_ngt_f64_e64 s5, 0, v[26:27]
	s_or_b32 s4, vcc_lo, s4
	s_or_b32 s4, s4, s5
	s_and_b32 exec_lo, exec_lo, s4
	s_cbranch_execz .LBB2_65
; %bb.60:                               ;   in Loop: Header=BB2_6 Depth=1
	v_cmp_le_f64_e32 vcc_lo, 0, v[18:19]
	v_cmp_le_f64_e64 s4, 0, v[16:17]
	v_cmp_le_f64_e64 s5, 0, v[10:11]
	v_cmp_gt_f64_e64 s6, 1.0, v[18:19]
	v_cmp_gt_f64_e64 s7, 1.0, v[16:17]
	;; [unrolled: 1-line block ×3, first 2 shown]
	v_cmp_le_f64_e64 s9, 0, v[24:25]
	v_cmp_le_f64_e64 s10, 0, v[22:23]
	;; [unrolled: 1-line block ×3, first 2 shown]
	v_cmp_gt_f64_e64 s12, 1.0, v[24:25]
	v_cmp_gt_f64_e64 s13, 1.0, v[22:23]
	;; [unrolled: 1-line block ×3, first 2 shown]
	v_mov_b32_e32 v10, 8
	s_and_b32 s4, vcc_lo, s4
	s_and_b32 s4, s4, s5
	s_and_b32 s4, s6, s4
	;; [unrolled: 1-line block ×10, first 2 shown]
	s_and_saveexec_b32 s9, s4
	s_cbranch_execz .LBB2_64
; %bb.61:                               ;   in Loop: Header=BB2_6 Depth=1
	v_cmp_nge_f64_e32 vcc_lo, v[36:37], v[34:35]
	v_cmp_nge_f64_e64 s4, v[28:29], v[34:35]
	v_cmp_nge_f64_e64 s5, v[26:27], v[34:35]
	v_mov_b32_e32 v10, 4
	s_or_b32 s4, vcc_lo, s4
	s_or_b32 s4, s4, s5
	s_and_saveexec_b32 s10, s4
	s_cbranch_execz .LBB2_63
; %bb.62:                               ;   in Loop: Header=BB2_6 Depth=1
	v_cmp_le_f64_e32 vcc_lo, 0, v[36:37]
	v_cmp_le_f64_e64 s4, 0, v[28:29]
	v_cmp_le_f64_e64 s5, 0, v[26:27]
	v_cmp_lt_f64_e64 s6, v[36:37], v[34:35]
	v_cmp_lt_f64_e64 s7, v[28:29], v[34:35]
	;; [unrolled: 1-line block ×3, first 2 shown]
	s_and_b32 s4, vcc_lo, s4
	s_and_b32 s4, s4, s5
	s_and_b32 s4, s6, s4
	;; [unrolled: 1-line block ×3, first 2 shown]
	s_and_b32 vcc_lo, s4, s8
	v_cndmask_b32_e32 v10, 8, v38, vcc_lo
.LBB2_63:                               ;   in Loop: Header=BB2_6 Depth=1
	s_or_b32 exec_lo, exec_lo, s10
.LBB2_64:                               ;   in Loop: Header=BB2_6 Depth=1
	s_or_b32 exec_lo, exec_lo, s9
	buffer_load_dword v11, v10, s[0:3], 0 offen
	s_waitcnt vmcnt(0)
	v_lshl_or_b32 v11, 2, s26, v11
	buffer_store_dword v11, v10, s[0:3], 0 offen
.LBB2_65:                               ;   in Loop: Header=BB2_6 Depth=1
	s_or_b32 exec_lo, exec_lo, s27
	s_cmp_lt_i32 s18, 2
	s_cbranch_scc1 .LBB2_73
; %bb.66:                               ;   in Loop: Header=BB2_6 Depth=1
	s_cmp_gt_i32 s18, 2
	s_cbranch_scc0 .LBB2_75
; %bb.67:                               ;   in Loop: Header=BB2_6 Depth=1
	s_mov_b32 s5, -1
	s_mov_b32 s8, 0
	s_cmp_gt_i32 s18, 3
	s_mov_b32 s4, 0
	s_cbranch_scc0 .LBB2_71
; %bb.68:                               ;   in Loop: Header=BB2_6 Depth=1
	s_cmp_eq_u32 s18, 4
	s_mov_b32 s4, -1
	s_cbranch_scc0 .LBB2_70
; %bb.69:                               ;   in Loop: Header=BB2_6 Depth=1
	s_mov_b32 s4, 0
.LBB2_70:                               ;   in Loop: Header=BB2_6 Depth=1
	s_mov_b32 s5, 0
.LBB2_71:                               ;   in Loop: Header=BB2_6 Depth=1
	s_and_b32 vcc_lo, exec_lo, s5
	s_cbranch_vccz .LBB2_77
; %bb.72:                               ;   in Loop: Header=BB2_6 Depth=1
	s_mov_b32 s8, 2
	s_mov_b32 s9, 3
	;; [unrolled: 1-line block ×8, first 2 shown]
	s_branch .LBB2_78
.LBB2_73:                               ;   in Loop: Header=BB2_6 Depth=1
	s_mov_b32 s4, 0
                                        ; implicit-def: $sgpr6
                                        ; implicit-def: $sgpr5
                                        ; implicit-def: $sgpr7
                                        ; implicit-def: $sgpr11
                                        ; implicit-def: $sgpr9
                                        ; implicit-def: $sgpr12
                                        ; implicit-def: $sgpr8
                                        ; implicit-def: $sgpr10
	s_cbranch_execnz .LBB2_79
	s_branch .LBB2_83
.LBB2_74:                               ;   in Loop: Header=BB2_6 Depth=1
	s_mov_b32 s9, 5
	s_mov_b32 s7, 7
	;; [unrolled: 1-line block ×7, first 2 shown]
	s_and_b32 vcc_lo, exec_lo, s4
	s_cbranch_vccnz .LBB2_54
	s_branch .LBB2_55
.LBB2_75:                               ;   in Loop: Header=BB2_6 Depth=1
	s_mov_b32 s4, 0
                                        ; implicit-def: $sgpr6
                                        ; implicit-def: $sgpr5
                                        ; implicit-def: $sgpr7
                                        ; implicit-def: $sgpr11
                                        ; implicit-def: $sgpr9
                                        ; implicit-def: $sgpr12
                                        ; implicit-def: $sgpr8
                                        ; implicit-def: $sgpr10
	s_cbranch_execz .LBB2_78
; %bb.76:                               ;   in Loop: Header=BB2_6 Depth=1
	s_movk_i32 s10, 0xd0
	s_mov_b32 s8, 0
	s_mov_b32 s9, 4
	;; [unrolled: 1-line block ×7, first 2 shown]
	s_branch .LBB2_83
.LBB2_77:                               ;   in Loop: Header=BB2_6 Depth=1
	s_movk_i32 s10, 0xd0
	s_mov_b32 s9, 1
	s_mov_b32 s7, 3
	;; [unrolled: 1-line block ×6, first 2 shown]
.LBB2_78:                               ;   in Loop: Header=BB2_6 Depth=1
	s_branch .LBB2_83
.LBB2_79:                               ;   in Loop: Header=BB2_6 Depth=1
	s_cmp_gt_i32 s18, 0
	s_mov_b32 s5, -1
	s_cbranch_scc0 .LBB2_81
; %bb.80:                               ;   in Loop: Header=BB2_6 Depth=1
	s_mov_b32 s5, 0
.LBB2_81:                               ;   in Loop: Header=BB2_6 Depth=1
	s_andn2_b32 vcc_lo, exec_lo, s5
	s_mov_b32 s8, 1
	s_cbranch_vccnz .LBB2_104
; %bb.82:                               ;   in Loop: Header=BB2_6 Depth=1
	s_cmp_lg_u32 s18, 0
	s_movk_i32 s10, 0xd0
	s_mov_b32 s9, 2
	s_mov_b32 s7, 6
	;; [unrolled: 1-line block ×3, first 2 shown]
	s_cselect_b32 s4, -1, 0
	s_mov_b32 s5, s24
	s_mov_b32 s11, s22
	;; [unrolled: 1-line block ×4, first 2 shown]
.LBB2_83:                               ;   in Loop: Header=BB2_6 Depth=1
	s_and_b32 vcc_lo, exec_lo, s4
	s_cbranch_vccz .LBB2_85
.LBB2_84:                               ;   in Loop: Header=BB2_6 Depth=1
	s_mov_b32 s6, 5
	s_mov_b32 s7, 7
	;; [unrolled: 1-line block ×8, first 2 shown]
.LBB2_85:                               ;   in Loop: Header=BB2_6 Depth=1
	v_mov_b32_e32 v11, s10
	v_mov_b32_e32 v17, s12
	;; [unrolled: 1-line block ×4, first 2 shown]
	s_clause 0x7
	buffer_load_dword v10, v11, s[0:3], 0 offen
	buffer_load_dword v11, v11, s[0:3], 0 offen offset:4
	buffer_load_dword v16, v17, s[0:3], 0 offen
	buffer_load_dword v17, v17, s[0:3], 0 offen offset:4
	;; [unrolled: 2-line block ×4, first 2 shown]
	s_waitcnt vmcnt(4)
	v_add_f64 v[10:11], v[10:11], v[16:17]
	s_waitcnt vmcnt(2)
	v_add_f64 v[16:17], v[18:19], -v[0:1]
	v_add_f64 v[10:11], v[10:11], v[18:19]
	v_mul_f64 v[18:19], v[32:33], v[16:17]
	s_waitcnt vmcnt(0)
	v_add_f64 v[10:11], v[10:11], v[20:21]
	v_add_f64 v[20:21], v[20:21], -v[0:1]
	v_cmp_ngt_f64_e32 vcc_lo, 0, v[18:19]
	v_fma_f64 v[10:11], 0x3fd00000, v[10:11], -v[0:1]
	v_mul_f64 v[16:17], v[32:33], v[10:11]
	v_mul_f64 v[10:11], v[32:33], v[20:21]
	v_cmp_ngt_f64_e64 s4, 0, v[16:17]
	v_cmp_ngt_f64_e64 s5, 0, v[10:11]
	s_or_b32 s4, vcc_lo, s4
	s_or_b32 s4, s4, s5
	s_and_saveexec_b32 s27, s4
	s_cbranch_execz .LBB2_95
; %bb.86:                               ;   in Loop: Header=BB2_6 Depth=1
	v_cmp_nle_f64_e32 vcc_lo, 1.0, v[18:19]
	v_cmp_nle_f64_e64 s4, 1.0, v[16:17]
	v_cmp_nle_f64_e64 s5, 1.0, v[10:11]
	s_or_b32 s4, vcc_lo, s4
	s_or_b32 s4, s4, s5
	s_and_b32 exec_lo, exec_lo, s4
	s_cbranch_execz .LBB2_95
; %bb.87:                               ;   in Loop: Header=BB2_6 Depth=1
	s_lshl_b32 s4, s8, 3
	s_lshl_b32 s5, s9, 3
	s_add_i32 s9, s4, 0xd0
	s_add_i32 s8, s5, 0xd0
	v_mov_b32_e32 v21, s9
	v_mov_b32_e32 v23, s8
	s_lshl_b32 s4, s7, 3
	s_clause 0x3
	buffer_load_dword v20, v21, s[0:3], 0 offen offset:64
	buffer_load_dword v21, v21, s[0:3], 0 offen offset:68
	;; [unrolled: 1-line block ×4, first 2 shown]
	s_add_i32 s7, s4, 0xd0
	s_lshl_b32 s4, s6, 3
	v_mov_b32_e32 v25, s7
	s_clause 0x1
	buffer_load_dword v24, v25, s[0:3], 0 offen offset:64
	buffer_load_dword v25, v25, s[0:3], 0 offen offset:68
	s_add_i32 s6, s4, 0xd0
	v_mov_b32_e32 v27, s6
	s_clause 0x1
	buffer_load_dword v26, v27, s[0:3], 0 offen offset:64
	buffer_load_dword v27, v27, s[0:3], 0 offen offset:68
	s_waitcnt vmcnt(4)
	v_add_f64 v[20:21], v[20:21], v[22:23]
	s_waitcnt vmcnt(2)
	v_add_f64 v[22:23], v[24:25], -v[4:5]
	v_add_f64 v[20:21], v[20:21], v[24:25]
	v_mul_f64 v[24:25], v[6:7], v[22:23]
	s_waitcnt vmcnt(0)
	v_add_f64 v[20:21], v[20:21], v[26:27]
	v_add_f64 v[26:27], v[26:27], -v[4:5]
	v_cmp_ngt_f64_e32 vcc_lo, 0, v[24:25]
	v_fma_f64 v[20:21], 0x3fd00000, v[20:21], -v[4:5]
	v_mul_f64 v[22:23], v[6:7], v[20:21]
	v_mul_f64 v[20:21], v[6:7], v[26:27]
	v_cmp_ngt_f64_e64 s4, 0, v[22:23]
	v_cmp_ngt_f64_e64 s5, 0, v[20:21]
	s_or_b32 s4, vcc_lo, s4
	s_or_b32 s4, s4, s5
	s_and_b32 exec_lo, exec_lo, s4
	s_cbranch_execz .LBB2_95
; %bb.88:                               ;   in Loop: Header=BB2_6 Depth=1
	v_cmp_nle_f64_e32 vcc_lo, 1.0, v[24:25]
	v_cmp_nle_f64_e64 s4, 1.0, v[22:23]
	v_cmp_nle_f64_e64 s5, 1.0, v[20:21]
	s_or_b32 s4, vcc_lo, s4
	s_or_b32 s4, s4, s5
	s_and_b32 exec_lo, exec_lo, s4
	s_cbranch_execz .LBB2_95
; %bb.89:                               ;   in Loop: Header=BB2_6 Depth=1
	v_mov_b32_e32 v27, s9
	v_mov_b32_e32 v29, s8
	;; [unrolled: 1-line block ×4, first 2 shown]
	s_clause 0x7
	buffer_load_dword v26, v27, s[0:3], 0 offen offset:128
	buffer_load_dword v27, v27, s[0:3], 0 offen offset:132
	;; [unrolled: 1-line block ×8, first 2 shown]
	s_waitcnt vmcnt(4)
	v_add_f64 v[26:27], v[26:27], v[28:29]
	s_waitcnt vmcnt(2)
	v_add_f64 v[26:27], v[26:27], v[36:37]
	v_add_f64 v[36:37], v[36:37], -v[8:9]
	s_waitcnt vmcnt(0)
	v_add_f64 v[26:27], v[26:27], v[39:40]
	v_cmp_ngt_f64_e32 vcc_lo, 0, v[36:37]
	v_fma_f64 v[28:29], 0x3fd00000, v[26:27], -v[8:9]
	v_add_f64 v[26:27], v[39:40], -v[8:9]
	v_cmp_ngt_f64_e64 s4, 0, v[28:29]
	v_cmp_ngt_f64_e64 s5, 0, v[26:27]
	s_or_b32 s4, vcc_lo, s4
	s_or_b32 s4, s4, s5
	s_and_b32 exec_lo, exec_lo, s4
	s_cbranch_execz .LBB2_95
; %bb.90:                               ;   in Loop: Header=BB2_6 Depth=1
	v_cmp_le_f64_e32 vcc_lo, 0, v[18:19]
	v_cmp_le_f64_e64 s4, 0, v[16:17]
	v_cmp_le_f64_e64 s5, 0, v[10:11]
	v_cmp_gt_f64_e64 s6, 1.0, v[18:19]
	v_cmp_gt_f64_e64 s7, 1.0, v[16:17]
	;; [unrolled: 1-line block ×3, first 2 shown]
	v_cmp_le_f64_e64 s9, 0, v[24:25]
	v_cmp_le_f64_e64 s10, 0, v[22:23]
	;; [unrolled: 1-line block ×3, first 2 shown]
	v_cmp_gt_f64_e64 s12, 1.0, v[24:25]
	v_cmp_gt_f64_e64 s13, 1.0, v[22:23]
	;; [unrolled: 1-line block ×3, first 2 shown]
	v_mov_b32_e32 v10, 8
	s_and_b32 s4, vcc_lo, s4
	s_and_b32 s4, s4, s5
	s_and_b32 s4, s6, s4
	;; [unrolled: 1-line block ×10, first 2 shown]
	s_and_saveexec_b32 s9, s4
	s_cbranch_execz .LBB2_94
; %bb.91:                               ;   in Loop: Header=BB2_6 Depth=1
	v_cmp_nge_f64_e32 vcc_lo, v[36:37], v[34:35]
	v_cmp_nge_f64_e64 s4, v[28:29], v[34:35]
	v_cmp_nge_f64_e64 s5, v[26:27], v[34:35]
	v_mov_b32_e32 v10, 4
	s_or_b32 s4, vcc_lo, s4
	s_or_b32 s4, s4, s5
	s_and_saveexec_b32 s10, s4
	s_cbranch_execz .LBB2_93
; %bb.92:                               ;   in Loop: Header=BB2_6 Depth=1
	v_cmp_le_f64_e32 vcc_lo, 0, v[36:37]
	v_cmp_le_f64_e64 s4, 0, v[28:29]
	v_cmp_le_f64_e64 s5, 0, v[26:27]
	v_cmp_lt_f64_e64 s6, v[36:37], v[34:35]
	v_cmp_lt_f64_e64 s7, v[28:29], v[34:35]
	;; [unrolled: 1-line block ×3, first 2 shown]
	s_and_b32 s4, vcc_lo, s4
	s_and_b32 s4, s4, s5
	s_and_b32 s4, s6, s4
	;; [unrolled: 1-line block ×3, first 2 shown]
	s_and_b32 vcc_lo, s4, s8
	v_cndmask_b32_e32 v10, 8, v38, vcc_lo
.LBB2_93:                               ;   in Loop: Header=BB2_6 Depth=1
	s_or_b32 exec_lo, exec_lo, s10
.LBB2_94:                               ;   in Loop: Header=BB2_6 Depth=1
	s_or_b32 exec_lo, exec_lo, s9
	buffer_load_dword v11, v10, s[0:3], 0 offen
	s_waitcnt vmcnt(0)
	v_lshl_or_b32 v11, 4, s26, v11
	buffer_store_dword v11, v10, s[0:3], 0 offen
.LBB2_95:                               ;   in Loop: Header=BB2_6 Depth=1
	s_or_b32 exec_lo, exec_lo, s27
	s_cmp_lt_i32 s18, 2
	s_cbranch_scc1 .LBB2_103
; %bb.96:                               ;   in Loop: Header=BB2_6 Depth=1
	s_cmp_gt_i32 s18, 2
	s_cbranch_scc0 .LBB2_105
; %bb.97:                               ;   in Loop: Header=BB2_6 Depth=1
	s_mov_b32 s5, -1
	s_mov_b32 s8, 0
	s_cmp_gt_i32 s18, 3
	s_mov_b32 s4, 0
	s_cbranch_scc0 .LBB2_101
; %bb.98:                               ;   in Loop: Header=BB2_6 Depth=1
	s_cmp_eq_u32 s18, 4
	s_mov_b32 s4, -1
	s_cbranch_scc0 .LBB2_100
; %bb.99:                               ;   in Loop: Header=BB2_6 Depth=1
	s_mov_b32 s4, 0
.LBB2_100:                              ;   in Loop: Header=BB2_6 Depth=1
	s_mov_b32 s5, 0
.LBB2_101:                              ;   in Loop: Header=BB2_6 Depth=1
	s_and_b32 vcc_lo, exec_lo, s5
	s_cbranch_vccz .LBB2_107
; %bb.102:                              ;   in Loop: Header=BB2_6 Depth=1
	s_mov_b32 s8, 2
	s_mov_b32 s9, 3
	;; [unrolled: 1-line block ×8, first 2 shown]
	s_branch .LBB2_108
.LBB2_103:                              ;   in Loop: Header=BB2_6 Depth=1
	s_mov_b32 s4, 0
                                        ; implicit-def: $sgpr6
                                        ; implicit-def: $sgpr5
                                        ; implicit-def: $sgpr7
                                        ; implicit-def: $sgpr11
                                        ; implicit-def: $sgpr9
                                        ; implicit-def: $sgpr12
                                        ; implicit-def: $sgpr8
                                        ; implicit-def: $sgpr10
	s_cbranch_execnz .LBB2_109
	s_branch .LBB2_113
.LBB2_104:                              ;   in Loop: Header=BB2_6 Depth=1
	s_mov_b32 s9, 5
	s_mov_b32 s7, 7
	;; [unrolled: 1-line block ×7, first 2 shown]
	s_and_b32 vcc_lo, exec_lo, s4
	s_cbranch_vccnz .LBB2_84
	s_branch .LBB2_85
.LBB2_105:                              ;   in Loop: Header=BB2_6 Depth=1
	s_mov_b32 s4, 0
                                        ; implicit-def: $sgpr6
                                        ; implicit-def: $sgpr5
                                        ; implicit-def: $sgpr7
                                        ; implicit-def: $sgpr11
                                        ; implicit-def: $sgpr9
                                        ; implicit-def: $sgpr12
                                        ; implicit-def: $sgpr8
                                        ; implicit-def: $sgpr10
	s_cbranch_execz .LBB2_108
; %bb.106:                              ;   in Loop: Header=BB2_6 Depth=1
	s_movk_i32 s10, 0xd0
	s_mov_b32 s8, 0
	s_mov_b32 s9, 4
	;; [unrolled: 1-line block ×7, first 2 shown]
	s_branch .LBB2_113
.LBB2_107:                              ;   in Loop: Header=BB2_6 Depth=1
	s_movk_i32 s10, 0xd0
	s_mov_b32 s9, 1
	s_mov_b32 s7, 3
	;; [unrolled: 1-line block ×6, first 2 shown]
.LBB2_108:                              ;   in Loop: Header=BB2_6 Depth=1
	s_branch .LBB2_113
.LBB2_109:                              ;   in Loop: Header=BB2_6 Depth=1
	s_cmp_gt_i32 s18, 0
	s_mov_b32 s5, -1
	s_cbranch_scc0 .LBB2_111
; %bb.110:                              ;   in Loop: Header=BB2_6 Depth=1
	s_mov_b32 s5, 0
.LBB2_111:                              ;   in Loop: Header=BB2_6 Depth=1
	s_andn2_b32 vcc_lo, exec_lo, s5
	s_mov_b32 s8, 1
	s_cbranch_vccnz .LBB2_123
; %bb.112:                              ;   in Loop: Header=BB2_6 Depth=1
	s_cmp_lg_u32 s18, 0
	s_movk_i32 s10, 0xd0
	s_mov_b32 s9, 2
	s_mov_b32 s7, 6
	;; [unrolled: 1-line block ×3, first 2 shown]
	s_cselect_b32 s4, -1, 0
	s_mov_b32 s5, s24
	s_mov_b32 s11, s22
	;; [unrolled: 1-line block ×4, first 2 shown]
.LBB2_113:                              ;   in Loop: Header=BB2_6 Depth=1
	s_and_b32 vcc_lo, exec_lo, s4
	s_cbranch_vccz .LBB2_115
.LBB2_114:                              ;   in Loop: Header=BB2_6 Depth=1
	s_mov_b32 s6, 5
	s_mov_b32 s7, 7
	;; [unrolled: 1-line block ×8, first 2 shown]
.LBB2_115:                              ;   in Loop: Header=BB2_6 Depth=1
	v_mov_b32_e32 v11, s10
	v_mov_b32_e32 v17, s12
	;; [unrolled: 1-line block ×4, first 2 shown]
	s_clause 0x7
	buffer_load_dword v10, v11, s[0:3], 0 offen
	buffer_load_dword v11, v11, s[0:3], 0 offen offset:4
	buffer_load_dword v16, v17, s[0:3], 0 offen
	buffer_load_dword v17, v17, s[0:3], 0 offen offset:4
	buffer_load_dword v18, v19, s[0:3], 0 offen
	buffer_load_dword v19, v19, s[0:3], 0 offen offset:4
	buffer_load_dword v20, v21, s[0:3], 0 offen
	buffer_load_dword v21, v21, s[0:3], 0 offen offset:4
	s_waitcnt vmcnt(4)
	v_add_f64 v[16:17], v[10:11], v[16:17]
	v_add_f64 v[10:11], v[10:11], -v[0:1]
	s_waitcnt vmcnt(2)
	v_add_f64 v[16:17], v[16:17], v[18:19]
	s_waitcnt vmcnt(0)
	v_add_f64 v[18:19], v[20:21], -v[0:1]
	v_mul_f64 v[10:11], v[32:33], v[10:11]
	v_add_f64 v[16:17], v[16:17], v[20:21]
	v_mul_f64 v[18:19], v[32:33], v[18:19]
	v_cmp_ngt_f64_e64 s5, 0, v[10:11]
	v_fma_f64 v[16:17], 0x3fd00000, v[16:17], -v[0:1]
	v_cmp_ngt_f64_e32 vcc_lo, 0, v[18:19]
	v_mul_f64 v[16:17], v[32:33], v[16:17]
	v_cmp_ngt_f64_e64 s4, 0, v[16:17]
	s_or_b32 s4, vcc_lo, s4
	s_or_b32 s4, s4, s5
	s_and_saveexec_b32 s27, s4
	s_cbranch_execz .LBB2_5
; %bb.116:                              ;   in Loop: Header=BB2_6 Depth=1
	v_cmp_nle_f64_e32 vcc_lo, 1.0, v[18:19]
	v_cmp_nle_f64_e64 s4, 1.0, v[16:17]
	v_cmp_nle_f64_e64 s5, 1.0, v[10:11]
	s_or_b32 s4, vcc_lo, s4
	s_or_b32 s4, s4, s5
	s_and_b32 exec_lo, exec_lo, s4
	s_cbranch_execz .LBB2_5
; %bb.117:                              ;   in Loop: Header=BB2_6 Depth=1
	s_lshl_b32 s4, s8, 3
	s_lshl_b32 s5, s9, 3
	s_add_i32 s9, s4, 0xd0
	s_add_i32 s8, s5, 0xd0
	v_mov_b32_e32 v21, s9
	v_mov_b32_e32 v23, s8
	s_lshl_b32 s4, s7, 3
	s_clause 0x3
	buffer_load_dword v20, v21, s[0:3], 0 offen offset:64
	buffer_load_dword v21, v21, s[0:3], 0 offen offset:68
	;; [unrolled: 1-line block ×4, first 2 shown]
	s_add_i32 s7, s4, 0xd0
	s_lshl_b32 s4, s6, 3
	v_mov_b32_e32 v25, s7
	s_clause 0x1
	buffer_load_dword v24, v25, s[0:3], 0 offen offset:64
	buffer_load_dword v25, v25, s[0:3], 0 offen offset:68
	s_add_i32 s6, s4, 0xd0
	v_mov_b32_e32 v27, s6
	s_clause 0x1
	buffer_load_dword v26, v27, s[0:3], 0 offen offset:64
	buffer_load_dword v27, v27, s[0:3], 0 offen offset:68
	s_waitcnt vmcnt(4)
	v_add_f64 v[22:23], v[20:21], v[22:23]
	v_add_f64 v[20:21], v[20:21], -v[4:5]
	s_waitcnt vmcnt(2)
	v_add_f64 v[22:23], v[22:23], v[24:25]
	s_waitcnt vmcnt(0)
	v_add_f64 v[24:25], v[26:27], -v[4:5]
	v_mul_f64 v[20:21], v[6:7], v[20:21]
	v_add_f64 v[22:23], v[22:23], v[26:27]
	v_mul_f64 v[24:25], v[6:7], v[24:25]
	v_cmp_ngt_f64_e64 s5, 0, v[20:21]
	v_fma_f64 v[22:23], 0x3fd00000, v[22:23], -v[4:5]
	v_cmp_ngt_f64_e32 vcc_lo, 0, v[24:25]
	v_mul_f64 v[22:23], v[6:7], v[22:23]
	v_cmp_ngt_f64_e64 s4, 0, v[22:23]
	s_or_b32 s4, vcc_lo, s4
	s_or_b32 s4, s4, s5
	s_and_b32 exec_lo, exec_lo, s4
	s_cbranch_execz .LBB2_5
; %bb.118:                              ;   in Loop: Header=BB2_6 Depth=1
	v_cmp_nle_f64_e32 vcc_lo, 1.0, v[24:25]
	v_cmp_nle_f64_e64 s4, 1.0, v[22:23]
	v_cmp_nle_f64_e64 s5, 1.0, v[20:21]
	s_or_b32 s4, vcc_lo, s4
	s_or_b32 s4, s4, s5
	s_and_b32 exec_lo, exec_lo, s4
	s_cbranch_execz .LBB2_5
; %bb.119:                              ;   in Loop: Header=BB2_6 Depth=1
	v_mov_b32_e32 v27, s9
	v_mov_b32_e32 v29, s8
	;; [unrolled: 1-line block ×4, first 2 shown]
	s_clause 0x7
	buffer_load_dword v26, v27, s[0:3], 0 offen offset:128
	buffer_load_dword v27, v27, s[0:3], 0 offen offset:132
	;; [unrolled: 1-line block ×8, first 2 shown]
	s_waitcnt vmcnt(4)
	v_add_f64 v[28:29], v[26:27], v[28:29]
	v_add_f64 v[26:27], v[26:27], -v[8:9]
	s_waitcnt vmcnt(2)
	v_add_f64 v[28:29], v[28:29], v[36:37]
	s_waitcnt vmcnt(0)
	v_add_f64 v[36:37], v[39:40], -v[8:9]
	v_cmp_ngt_f64_e64 s5, 0, v[26:27]
	v_add_f64 v[28:29], v[28:29], v[39:40]
	v_cmp_ngt_f64_e32 vcc_lo, 0, v[36:37]
	v_fma_f64 v[28:29], 0x3fd00000, v[28:29], -v[8:9]
	v_cmp_ngt_f64_e64 s4, 0, v[28:29]
	s_or_b32 s4, vcc_lo, s4
	s_or_b32 s4, s4, s5
	s_and_b32 exec_lo, exec_lo, s4
	s_cbranch_execz .LBB2_5
; %bb.120:                              ;   in Loop: Header=BB2_6 Depth=1
	v_cmp_le_f64_e32 vcc_lo, 0, v[18:19]
	v_cmp_le_f64_e64 s4, 0, v[16:17]
	v_cmp_le_f64_e64 s5, 0, v[10:11]
	v_cmp_gt_f64_e64 s6, 1.0, v[18:19]
	v_cmp_gt_f64_e64 s7, 1.0, v[16:17]
	;; [unrolled: 1-line block ×3, first 2 shown]
	v_cmp_le_f64_e64 s9, 0, v[24:25]
	v_cmp_le_f64_e64 s10, 0, v[22:23]
	;; [unrolled: 1-line block ×3, first 2 shown]
	v_cmp_gt_f64_e64 s12, 1.0, v[24:25]
	v_cmp_gt_f64_e64 s13, 1.0, v[22:23]
	;; [unrolled: 1-line block ×3, first 2 shown]
	v_mov_b32_e32 v10, 8
	s_and_b32 s4, vcc_lo, s4
	s_and_b32 s4, s4, s5
	s_and_b32 s4, s6, s4
	;; [unrolled: 1-line block ×10, first 2 shown]
	s_and_saveexec_b32 s9, s4
	s_cbranch_execz .LBB2_4
; %bb.121:                              ;   in Loop: Header=BB2_6 Depth=1
	v_cmp_nge_f64_e32 vcc_lo, v[36:37], v[34:35]
	v_cmp_nge_f64_e64 s4, v[28:29], v[34:35]
	v_cmp_nge_f64_e64 s5, v[26:27], v[34:35]
	v_mov_b32_e32 v10, 4
	s_or_b32 s4, vcc_lo, s4
	s_or_b32 s4, s4, s5
	s_and_saveexec_b32 s10, s4
	s_cbranch_execz .LBB2_3
; %bb.122:                              ;   in Loop: Header=BB2_6 Depth=1
	v_cmp_le_f64_e32 vcc_lo, 0, v[36:37]
	v_cmp_le_f64_e64 s4, 0, v[28:29]
	v_cmp_le_f64_e64 s5, 0, v[26:27]
	v_cmp_lt_f64_e64 s6, v[36:37], v[34:35]
	v_cmp_lt_f64_e64 s7, v[28:29], v[34:35]
	;; [unrolled: 1-line block ×3, first 2 shown]
	s_and_b32 s4, vcc_lo, s4
	s_and_b32 s4, s4, s5
	s_and_b32 s4, s6, s4
	;; [unrolled: 1-line block ×3, first 2 shown]
	s_and_b32 vcc_lo, s4, s8
	v_cndmask_b32_e32 v10, 8, v38, vcc_lo
	s_branch .LBB2_3
.LBB2_123:                              ;   in Loop: Header=BB2_6 Depth=1
	s_mov_b32 s9, 5
	s_mov_b32 s7, 7
	;; [unrolled: 1-line block ×7, first 2 shown]
	s_and_b32 vcc_lo, exec_lo, s4
	s_cbranch_vccnz .LBB2_114
	s_branch .LBB2_115
.LBB2_124:
	buffer_load_dword v10, off, s[0:3], 0 offset:8
	v_and_b32_e32 v11, 63, v30
	s_mov_b32 s10, 0
	s_mov_b32 s5, exec_lo
	v_mul_u32_u24_e32 v69, 0xf8, v11
	s_waitcnt vmcnt(0)
	v_and_b32_e32 v17, 1, v10
	v_bfe_u32 v19, v10, 1, 1
	v_and_b32_e32 v18, 2, v10
	v_bfe_u32 v21, v10, 2, 1
	v_and_b32_e32 v20, 4, v10
	v_cmp_eq_u32_e32 vcc_lo, 1, v17
	v_bfe_u32 v23, v10, 3, 1
	v_and_b32_e32 v22, 8, v10
	v_bfe_u32 v25, v10, 4, 1
	v_and_b32_e32 v24, 16, v10
	v_cndmask_b32_e64 v26, 0, 0x100, vcc_lo
	v_cmp_eq_u32_e32 vcc_lo, 0, v17
	v_and_b32_e32 v16, 32, v10
	v_cndmask_b32_e64 v27, 0, 1, vcc_lo
	v_cmp_eq_u32_e32 vcc_lo, 3, v17
	v_cndmask_b32_e64 v28, 0, 0x100, vcc_lo
	v_cmp_eq_u32_e32 vcc_lo, 2, v17
	;; [unrolled: 2-line block ×22, first 2 shown]
	v_add_nc_u32_e32 v17, v19, v17
	v_or_b32_e32 v19, v27, v26
	v_or_b32_sdwa v26, v29, v28 dst_sel:WORD_1 dst_unused:UNUSED_PAD src0_sel:DWORD src1_sel:DWORD
	v_or_b32_e32 v27, v37, v36
	v_cndmask_b32_e64 v55, 0, 1, vcc_lo
	v_or_b32_sdwa v28, v39, v38 dst_sel:WORD_1 dst_unused:UNUSED_PAD src0_sel:DWORD src1_sel:DWORD
	v_or_b32_e32 v29, v41, v40
	v_or_b32_sdwa v36, v43, v42 dst_sel:WORD_1 dst_unused:UNUSED_PAD src0_sel:DWORD src1_sel:DWORD
	v_or_b32_e32 v37, v45, v44
	v_or_b32_sdwa v38, v47, v46 dst_sel:WORD_1 dst_unused:UNUSED_PAD src0_sel:DWORD src1_sel:DWORD
	v_or_b32_e32 v39, v49, v48
	v_or_b32_sdwa v40, v51, v50 dst_sel:WORD_1 dst_unused:UNUSED_PAD src0_sel:DWORD src1_sel:DWORD
	v_or_b32_e32 v41, v53, v52
	v_or_b32_sdwa v42, v55, v54 dst_sel:WORD_1 dst_unused:UNUSED_PAD src0_sel:DWORD src1_sel:DWORD
	v_or_b32_sdwa v19, v19, v26 dst_sel:DWORD dst_unused:UNUSED_PAD src0_sel:WORD_0 src1_sel:DWORD
	v_or_b32_sdwa v26, v27, v28 dst_sel:DWORD dst_unused:UNUSED_PAD src0_sel:WORD_0 src1_sel:DWORD
	v_or_b32_sdwa v27, v39, v40 dst_sel:DWORD dst_unused:UNUSED_PAD src0_sel:WORD_0 src1_sel:DWORD
	v_cmp_ne_u32_e32 vcc_lo, 0, v18
	v_or_b32_sdwa v28, v41, v42 dst_sel:DWORD dst_unused:UNUSED_PAD src0_sel:WORD_0 src1_sel:DWORD
	v_or_b32_sdwa v18, v37, v38 dst_sel:DWORD dst_unused:UNUSED_PAD src0_sel:WORD_0 src1_sel:DWORD
	;; [unrolled: 1-line block ×3, first 2 shown]
	v_add_nc_u32_e32 v21, v17, v21
	v_cndmask_b32_e32 v27, 0, v27, vcc_lo
	v_cndmask_b32_e32 v28, 0, v28, vcc_lo
	;; [unrolled: 1-line block ×6, first 2 shown]
	v_cmp_ne_u32_e32 vcc_lo, 0, v17
	v_lshrrev_b32_e32 v49, 8, v18
	v_lshrrev_b32_e32 v37, 8, v19
	v_lshrrev_b32_e32 v38, 24, v19
	v_lshrrev_b32_e32 v39, 16, v19
	v_cndmask_b32_e32 v36, 2, v19, vcc_lo
	v_cmp_ne_u32_e32 vcc_lo, 4, v17
	v_lshrrev_b32_e32 v41, 8, v26
	v_lshrrev_b32_e32 v42, 24, v26
	v_lshrrev_b32_e32 v43, 16, v26
	v_lshrrev_b32_e32 v45, 8, v29
	v_cndmask_b32_e32 v40, 2, v26, vcc_lo
	;; [unrolled: 6-line block ×4, first 2 shown]
	v_cmp_ne_u32_e32 vcc_lo, 16, v17
	v_lshrrev_b32_e32 v58, 24, v28
	v_lshrrev_b32_e32 v59, 16, v28
	v_add_nc_u32_e32 v23, v21, v23
	v_cndmask_b32_e32 v52, 2, v27, vcc_lo
	v_cmp_ne_u32_e32 vcc_lo, 20, v17
	v_add_nc_u32_e32 v25, v23, v25
	v_cndmask_b32_e32 v56, 2, v28, vcc_lo
	v_cmp_ne_u32_e32 vcc_lo, 1, v17
	v_cmp_ne_u32_e64 s4, 13, v25
	v_cndmask_b32_e32 v37, 2, v37, vcc_lo
	v_cmp_ne_u32_e32 vcc_lo, 3, v17
	v_lshlrev_b16 v37, 8, v37
	v_cndmask_b32_e32 v38, 2, v38, vcc_lo
	v_cmp_ne_u32_e32 vcc_lo, 2, v17
	v_or_b32_sdwa v36, v36, v37 dst_sel:DWORD dst_unused:UNUSED_PAD src0_sel:BYTE_0 src1_sel:DWORD
	v_lshlrev_b16 v38, 8, v38
	v_cndmask_b32_e32 v39, 2, v39, vcc_lo
	v_cmp_ne_u32_e32 vcc_lo, 5, v17
	v_or_b32_sdwa v37, v39, v38 dst_sel:WORD_1 dst_unused:UNUSED_PAD src0_sel:BYTE_0 src1_sel:DWORD
	v_cndmask_b32_e32 v41, 2, v41, vcc_lo
	v_cmp_ne_u32_e32 vcc_lo, 7, v17
	v_lshlrev_b16 v41, 8, v41
	v_cndmask_b32_e32 v42, 2, v42, vcc_lo
	v_cmp_ne_u32_e32 vcc_lo, 6, v17
	v_or_b32_sdwa v38, v40, v41 dst_sel:DWORD dst_unused:UNUSED_PAD src0_sel:BYTE_0 src1_sel:DWORD
	v_lshlrev_b16 v42, 8, v42
	v_cndmask_b32_e32 v43, 2, v43, vcc_lo
	v_cmp_ne_u32_e32 vcc_lo, 9, v17
	v_or_b32_sdwa v39, v43, v42 dst_sel:WORD_1 dst_unused:UNUSED_PAD src0_sel:BYTE_0 src1_sel:DWORD
	;; [unrolled: 10-line block ×5, first 2 shown]
	v_cndmask_b32_e32 v57, 2, v57, vcc_lo
	v_cmp_ne_u32_e32 vcc_lo, 23, v17
	v_lshlrev_b16 v57, 8, v57
	v_cndmask_b32_e32 v58, 2, v58, vcc_lo
	v_cmp_ne_u32_e32 vcc_lo, 22, v17
	v_or_b32_sdwa v42, v56, v57 dst_sel:DWORD dst_unused:UNUSED_PAD src0_sel:BYTE_0 src1_sel:DWORD
	v_lshlrev_b16 v58, 8, v58
	v_cndmask_b32_e32 v17, 2, v59, vcc_lo
	v_cmp_eq_u32_e32 vcc_lo, 0, v20
	v_or_b32_sdwa v20, v36, v37 dst_sel:DWORD dst_unused:UNUSED_PAD src0_sel:WORD_0 src1_sel:DWORD
	v_or_b32_sdwa v36, v44, v45 dst_sel:DWORD dst_unused:UNUSED_PAD src0_sel:WORD_0 src1_sel:DWORD
	;; [unrolled: 1-line block ×3, first 2 shown]
	v_or_b32_sdwa v17, v17, v58 dst_sel:WORD_1 dst_unused:UNUSED_PAD src0_sel:BYTE_0 src1_sel:DWORD
	v_or_b32_sdwa v38, v43, v46 dst_sel:DWORD dst_unused:UNUSED_PAD src0_sel:WORD_0 src1_sel:DWORD
	v_or_b32_sdwa v39, v40, v41 dst_sel:DWORD dst_unused:UNUSED_PAD src0_sel:WORD_0 src1_sel:DWORD
	v_cndmask_b32_e32 v27, v36, v27, vcc_lo
	v_cndmask_b32_e32 v19, v20, v19, vcc_lo
	v_or_b32_sdwa v17, v42, v17 dst_sel:DWORD dst_unused:UNUSED_PAD src0_sel:WORD_0 src1_sel:DWORD
	v_cndmask_b32_e32 v18, v38, v18, vcc_lo
	v_cndmask_b32_e32 v20, v39, v29, vcc_lo
	;; [unrolled: 1-line block ×3, first 2 shown]
	v_lshrrev_b32_e32 v29, 8, v19
	v_cndmask_b32_e32 v17, v17, v28, vcc_lo
	v_cmp_ne_u32_e32 vcc_lo, 0, v21
	v_lshrrev_b32_e32 v36, 24, v19
	v_lshrrev_b32_e32 v37, 16, v19
	v_lshrrev_b32_e32 v39, 8, v26
	v_lshrrev_b32_e32 v40, 24, v26
	v_cndmask_b32_e32 v28, 3, v19, vcc_lo
	v_cmp_ne_u32_e32 vcc_lo, 4, v21
	v_lshrrev_b32_e32 v41, 16, v26
	v_lshrrev_b32_e32 v43, 8, v20
	v_lshrrev_b32_e32 v44, 24, v20
	;; [unrolled: 6-line block ×4, first 2 shown]
	v_lshrrev_b32_e32 v56, 24, v17
	v_cndmask_b32_e32 v46, 3, v18, vcc_lo
	v_cmp_ne_u32_e32 vcc_lo, 16, v21
	v_lshrrev_b32_e32 v57, 16, v17
	v_cndmask_b32_e32 v50, 3, v27, vcc_lo
	v_cmp_ne_u32_e32 vcc_lo, 20, v21
	v_cndmask_b32_e32 v54, 3, v17, vcc_lo
	v_cmp_ne_u32_e32 vcc_lo, 1, v21
	v_cndmask_b32_e32 v29, 3, v29, vcc_lo
	v_cmp_ne_u32_e32 vcc_lo, 3, v21
	v_lshlrev_b16 v29, 8, v29
	v_cndmask_b32_e32 v36, 3, v36, vcc_lo
	v_cmp_ne_u32_e32 vcc_lo, 2, v21
	v_or_b32_sdwa v28, v28, v29 dst_sel:DWORD dst_unused:UNUSED_PAD src0_sel:BYTE_0 src1_sel:DWORD
	v_lshlrev_b16 v36, 8, v36
	v_cndmask_b32_e32 v37, 3, v37, vcc_lo
	v_cmp_ne_u32_e32 vcc_lo, 5, v21
	v_or_b32_sdwa v29, v37, v36 dst_sel:WORD_1 dst_unused:UNUSED_PAD src0_sel:BYTE_0 src1_sel:DWORD
	v_cndmask_b32_e32 v39, 3, v39, vcc_lo
	v_cmp_ne_u32_e32 vcc_lo, 7, v21
	v_lshlrev_b16 v39, 8, v39
	v_cndmask_b32_e32 v40, 3, v40, vcc_lo
	v_cmp_ne_u32_e32 vcc_lo, 6, v21
	v_or_b32_sdwa v36, v38, v39 dst_sel:DWORD dst_unused:UNUSED_PAD src0_sel:BYTE_0 src1_sel:DWORD
	v_lshlrev_b16 v40, 8, v40
	v_cndmask_b32_e32 v41, 3, v41, vcc_lo
	v_cmp_ne_u32_e32 vcc_lo, 9, v21
	v_or_b32_sdwa v37, v41, v40 dst_sel:WORD_1 dst_unused:UNUSED_PAD src0_sel:BYTE_0 src1_sel:DWORD
	v_cndmask_b32_e32 v43, 3, v43, vcc_lo
	v_cmp_ne_u32_e32 vcc_lo, 11, v21
	v_lshlrev_b16 v43, 8, v43
	v_cndmask_b32_e32 v44, 3, v44, vcc_lo
	v_cmp_ne_u32_e32 vcc_lo, 10, v21
	v_or_b32_sdwa v38, v42, v43 dst_sel:DWORD dst_unused:UNUSED_PAD src0_sel:BYTE_0 src1_sel:DWORD
	v_lshlrev_b16 v44, 8, v44
	v_cndmask_b32_e32 v45, 3, v45, vcc_lo
	v_cmp_ne_u32_e32 vcc_lo, 13, v21
	v_or_b32_sdwa v39, v45, v44 dst_sel:WORD_1 dst_unused:UNUSED_PAD src0_sel:BYTE_0 src1_sel:DWORD
	v_cndmask_b32_e32 v47, 3, v47, vcc_lo
	v_cmp_ne_u32_e32 vcc_lo, 15, v21
	v_lshlrev_b16 v47, 8, v47
	v_cndmask_b32_e32 v48, 3, v48, vcc_lo
	v_cmp_ne_u32_e32 vcc_lo, 14, v21
	v_or_b32_sdwa v41, v46, v47 dst_sel:DWORD dst_unused:UNUSED_PAD src0_sel:BYTE_0 src1_sel:DWORD
	v_lshlrev_b16 v48, 8, v48
	v_cndmask_b32_e32 v49, 3, v49, vcc_lo
	v_cmp_ne_u32_e32 vcc_lo, 17, v21
	v_or_b32_sdwa v44, v49, v48 dst_sel:WORD_1 dst_unused:UNUSED_PAD src0_sel:BYTE_0 src1_sel:DWORD
	v_cndmask_b32_e32 v51, 3, v51, vcc_lo
	v_cmp_ne_u32_e32 vcc_lo, 19, v21
	v_lshlrev_b16 v51, 8, v51
	v_cndmask_b32_e32 v52, 3, v52, vcc_lo
	v_cmp_ne_u32_e32 vcc_lo, 18, v21
	v_or_b32_sdwa v42, v50, v51 dst_sel:DWORD dst_unused:UNUSED_PAD src0_sel:BYTE_0 src1_sel:DWORD
	v_lshlrev_b16 v52, 8, v52
	v_cndmask_b32_e32 v53, 3, v53, vcc_lo
	v_cmp_ne_u32_e32 vcc_lo, 21, v21
	v_or_b32_sdwa v43, v53, v52 dst_sel:WORD_1 dst_unused:UNUSED_PAD src0_sel:BYTE_0 src1_sel:DWORD
	v_cndmask_b32_e32 v55, 3, v55, vcc_lo
	v_cmp_ne_u32_e32 vcc_lo, 23, v21
	v_lshlrev_b16 v55, 8, v55
	v_cndmask_b32_e32 v56, 3, v56, vcc_lo
	v_cmp_ne_u32_e32 vcc_lo, 22, v21
	v_or_b32_sdwa v40, v54, v55 dst_sel:DWORD dst_unused:UNUSED_PAD src0_sel:BYTE_0 src1_sel:DWORD
	v_lshlrev_b16 v56, 8, v56
	v_cndmask_b32_e32 v21, 3, v57, vcc_lo
	v_cmp_eq_u32_e32 vcc_lo, 0, v22
	v_or_b32_sdwa v22, v28, v29 dst_sel:DWORD dst_unused:UNUSED_PAD src0_sel:WORD_0 src1_sel:DWORD
	v_or_b32_sdwa v28, v42, v43 dst_sel:DWORD dst_unused:UNUSED_PAD src0_sel:WORD_0 src1_sel:DWORD
	v_or_b32_sdwa v29, v36, v37 dst_sel:DWORD dst_unused:UNUSED_PAD src0_sel:WORD_0 src1_sel:DWORD
	v_or_b32_sdwa v21, v21, v56 dst_sel:WORD_1 dst_unused:UNUSED_PAD src0_sel:BYTE_0 src1_sel:DWORD
	v_or_b32_sdwa v36, v41, v44 dst_sel:DWORD dst_unused:UNUSED_PAD src0_sel:WORD_0 src1_sel:DWORD
	v_or_b32_sdwa v37, v38, v39 dst_sel:DWORD dst_unused:UNUSED_PAD src0_sel:WORD_0 src1_sel:DWORD
	v_cndmask_b32_e32 v19, v22, v19, vcc_lo
	v_cndmask_b32_e32 v22, v29, v26, vcc_lo
	v_or_b32_sdwa v21, v40, v21 dst_sel:DWORD dst_unused:UNUSED_PAD src0_sel:WORD_0 src1_sel:DWORD
	v_cndmask_b32_e32 v18, v36, v18, vcc_lo
	v_cndmask_b32_e32 v20, v37, v20, vcc_lo
	v_lshrrev_b32_e32 v29, 16, v19
	v_lshrrev_b32_e32 v37, 8, v22
	v_cndmask_b32_e32 v17, v21, v17, vcc_lo
	v_cndmask_b32_e32 v21, v28, v27, vcc_lo
	v_cmp_ne_u32_e32 vcc_lo, 0, v23
	v_lshrrev_b32_e32 v27, 8, v19
	v_lshrrev_b32_e32 v28, 24, v19
	v_lshrrev_b32_e32 v38, 24, v22
	v_lshrrev_b32_e32 v39, 16, v22
	v_cndmask_b32_e32 v26, 4, v19, vcc_lo
	v_cmp_ne_u32_e32 vcc_lo, 4, v23
	v_lshrrev_b32_e32 v41, 8, v20
	v_lshrrev_b32_e32 v42, 24, v20
	v_lshrrev_b32_e32 v43, 16, v20
	v_lshrrev_b32_e32 v45, 8, v18
	;; [unrolled: 6-line block ×4, first 2 shown]
	v_cndmask_b32_e32 v44, 4, v18, vcc_lo
	v_cmp_ne_u32_e32 vcc_lo, 16, v23
	v_cndmask_b32_e32 v48, 4, v21, vcc_lo
	v_cmp_ne_u32_e32 vcc_lo, 20, v23
	;; [unrolled: 2-line block ×4, first 2 shown]
	v_lshlrev_b16 v27, 8, v27
	v_cndmask_b32_e32 v28, 4, v28, vcc_lo
	v_cmp_ne_u32_e32 vcc_lo, 2, v23
	v_or_b32_sdwa v26, v26, v27 dst_sel:DWORD dst_unused:UNUSED_PAD src0_sel:BYTE_0 src1_sel:DWORD
	v_lshlrev_b16 v28, 8, v28
	v_cndmask_b32_e32 v29, 4, v29, vcc_lo
	v_cmp_ne_u32_e32 vcc_lo, 5, v23
	v_or_b32_sdwa v27, v29, v28 dst_sel:WORD_1 dst_unused:UNUSED_PAD src0_sel:BYTE_0 src1_sel:DWORD
	v_cndmask_b32_e32 v37, 4, v37, vcc_lo
	v_cmp_ne_u32_e32 vcc_lo, 7, v23
	v_lshlrev_b16 v37, 8, v37
	v_cndmask_b32_e32 v38, 4, v38, vcc_lo
	v_cmp_ne_u32_e32 vcc_lo, 6, v23
	v_or_b32_sdwa v28, v36, v37 dst_sel:DWORD dst_unused:UNUSED_PAD src0_sel:BYTE_0 src1_sel:DWORD
	v_lshlrev_b16 v38, 8, v38
	v_cndmask_b32_e32 v39, 4, v39, vcc_lo
	v_cmp_ne_u32_e32 vcc_lo, 9, v23
	v_or_b32_sdwa v29, v39, v38 dst_sel:WORD_1 dst_unused:UNUSED_PAD src0_sel:BYTE_0 src1_sel:DWORD
	v_cndmask_b32_e32 v41, 4, v41, vcc_lo
	v_cmp_ne_u32_e32 vcc_lo, 11, v23
	;; [unrolled: 10-line block ×5, first 2 shown]
	v_lshlrev_b16 v53, 8, v53
	v_cndmask_b32_e32 v54, 4, v54, vcc_lo
	v_cmp_ne_u32_e32 vcc_lo, 22, v23
	v_or_b32_sdwa v38, v52, v53 dst_sel:DWORD dst_unused:UNUSED_PAD src0_sel:BYTE_0 src1_sel:DWORD
	v_lshlrev_b16 v54, 8, v54
	v_cndmask_b32_e32 v23, 4, v55, vcc_lo
	v_cmp_eq_u32_e32 vcc_lo, 0, v24
	v_or_b32_sdwa v24, v26, v27 dst_sel:DWORD dst_unused:UNUSED_PAD src0_sel:WORD_0 src1_sel:DWORD
	v_or_b32_sdwa v26, v40, v41 dst_sel:DWORD dst_unused:UNUSED_PAD src0_sel:WORD_0 src1_sel:DWORD
	v_or_b32_sdwa v27, v28, v29 dst_sel:DWORD dst_unused:UNUSED_PAD src0_sel:WORD_0 src1_sel:DWORD
	v_or_b32_sdwa v23, v23, v54 dst_sel:WORD_1 dst_unused:UNUSED_PAD src0_sel:BYTE_0 src1_sel:DWORD
	v_or_b32_sdwa v28, v39, v42 dst_sel:DWORD dst_unused:UNUSED_PAD src0_sel:WORD_0 src1_sel:DWORD
	v_or_b32_sdwa v29, v36, v37 dst_sel:DWORD dst_unused:UNUSED_PAD src0_sel:WORD_0 src1_sel:DWORD
	v_cndmask_b32_e32 v21, v26, v21, vcc_lo
	v_cndmask_b32_e32 v19, v24, v19, vcc_lo
	v_or_b32_sdwa v23, v38, v23 dst_sel:DWORD dst_unused:UNUSED_PAD src0_sel:WORD_0 src1_sel:DWORD
	v_cndmask_b32_e32 v18, v28, v18, vcc_lo
	v_cndmask_b32_e32 v20, v29, v20, vcc_lo
	;; [unrolled: 1-line block ×3, first 2 shown]
	v_lshrrev_b32_e32 v24, 8, v19
	v_cndmask_b32_e32 v17, v23, v17, vcc_lo
	v_cmp_ne_u32_e32 vcc_lo, 0, v25
	v_lshrrev_b32_e32 v26, 24, v19
	v_lshrrev_b32_e32 v27, 16, v19
	v_lshrrev_b32_e32 v29, 8, v22
	v_lshrrev_b32_e32 v36, 24, v22
	v_cndmask_b32_e32 v23, 5, v19, vcc_lo
	v_cmp_ne_u32_e32 vcc_lo, 4, v25
	v_lshrrev_b32_e32 v37, 16, v22
	v_lshrrev_b32_e32 v39, 8, v20
	v_lshrrev_b32_e32 v40, 24, v20
	;; [unrolled: 6-line block ×3, first 2 shown]
	v_cndmask_b32_e32 v38, 5, v20, vcc_lo
	v_cmp_ne_u32_e32 vcc_lo, 20, v25
	v_cndmask_b32_e32 v42, 5, v17, vcc_lo
	v_cmp_ne_u32_e32 vcc_lo, 1, v25
	;; [unrolled: 2-line block ×3, first 2 shown]
	v_lshlrev_b16 v24, 8, v24
	v_cndmask_b32_e32 v26, 5, v26, vcc_lo
	v_cmp_ne_u32_e32 vcc_lo, 2, v25
	v_or_b32_sdwa v23, v23, v24 dst_sel:DWORD dst_unused:UNUSED_PAD src0_sel:BYTE_0 src1_sel:DWORD
	v_lshlrev_b16 v26, 8, v26
	v_cndmask_b32_e32 v27, 5, v27, vcc_lo
	v_cmp_ne_u32_e32 vcc_lo, 5, v25
	v_or_b32_sdwa v26, v27, v26 dst_sel:WORD_1 dst_unused:UNUSED_PAD src0_sel:BYTE_0 src1_sel:DWORD
	v_cndmask_b32_e32 v29, 5, v29, vcc_lo
	v_cmp_ne_u32_e32 vcc_lo, 7, v25
	v_or_b32_sdwa v23, v23, v26 dst_sel:DWORD dst_unused:UNUSED_PAD src0_sel:WORD_0 src1_sel:DWORD
	v_lshlrev_b16 v29, 8, v29
	v_cndmask_b32_e32 v36, 5, v36, vcc_lo
	v_cmp_ne_u32_e32 vcc_lo, 6, v25
	v_or_b32_sdwa v27, v28, v29 dst_sel:DWORD dst_unused:UNUSED_PAD src0_sel:BYTE_0 src1_sel:DWORD
	v_lshlrev_b16 v36, 8, v36
	v_cndmask_b32_e32 v37, 5, v37, vcc_lo
	v_cmp_ne_u32_e32 vcc_lo, 9, v25
	v_or_b32_sdwa v28, v37, v36 dst_sel:WORD_1 dst_unused:UNUSED_PAD src0_sel:BYTE_0 src1_sel:DWORD
	v_cndmask_b32_e32 v39, 5, v39, vcc_lo
	v_cmp_ne_u32_e32 vcc_lo, 11, v25
	v_lshrrev_b32_e32 v36, 24, v18
	v_lshrrev_b32_e32 v37, 16, v20
	v_or_b32_sdwa v26, v27, v28 dst_sel:DWORD dst_unused:UNUSED_PAD src0_sel:WORD_0 src1_sel:DWORD
	v_lshlrev_b16 v39, 8, v39
	v_cndmask_b32_e32 v40, 5, v40, vcc_lo
	v_cmp_ne_u32_e32 vcc_lo, 21, v25
	v_or_b32_sdwa v29, v38, v39 dst_sel:DWORD dst_unused:UNUSED_PAD src0_sel:BYTE_0 src1_sel:DWORD
	v_cndmask_b32_e64 v38, 5, v41, s4
	v_cndmask_b32_e32 v43, 5, v43, vcc_lo
	v_cmp_ne_u32_e32 vcc_lo, 23, v25
	v_cmp_ne_u32_e64 s4, 15, v25
	v_lshrrev_b32_e32 v41, 8, v21
	v_lshlrev_b16 v38, 8, v38
	v_lshlrev_b16 v43, 8, v43
	v_cndmask_b32_e32 v44, 5, v44, vcc_lo
	v_cmp_ne_u32_e32 vcc_lo, 22, v25
	v_cndmask_b32_e64 v36, 5, v36, s4
	v_cmp_ne_u32_e64 s4, 12, v25
	v_or_b32_sdwa v24, v42, v43 dst_sel:DWORD dst_unused:UNUSED_PAD src0_sel:BYTE_0 src1_sel:DWORD
	v_lshlrev_b16 v44, 8, v44
	v_cndmask_b32_e32 v45, 5, v45, vcc_lo
	v_cmp_eq_u32_e32 vcc_lo, 0, v16
	v_lshlrev_b16 v16, 8, v40
	v_cndmask_b32_e64 v39, 5, v18, s4
	v_lshrrev_b32_e32 v40, 16, v18
	v_cmp_ne_u32_e64 s4, 14, v25
	v_or_b32_sdwa v42, v45, v44 dst_sel:WORD_1 dst_unused:UNUSED_PAD src0_sel:BYTE_0 src1_sel:DWORD
	v_lshrrev_b32_e32 v43, 16, v21
	v_lshlrev_b16 v36, 8, v36
	v_or_b32_sdwa v38, v39, v38 dst_sel:DWORD dst_unused:UNUSED_PAD src0_sel:BYTE_0 src1_sel:DWORD
	v_cndmask_b32_e64 v40, 5, v40, s4
	v_cmp_ne_u32_e64 s4, 17, v25
	v_or_b32_sdwa v24, v24, v42 dst_sel:DWORD dst_unused:UNUSED_PAD src0_sel:WORD_0 src1_sel:DWORD
	v_lshrrev_b32_e32 v42, 24, v21
	v_cndmask_b32_e32 v19, v23, v19, vcc_lo
	v_or_b32_sdwa v36, v40, v36 dst_sel:WORD_1 dst_unused:UNUSED_PAD src0_sel:BYTE_0 src1_sel:DWORD
	v_cndmask_b32_e64 v41, 5, v41, s4
	v_cmp_ne_u32_e64 s4, 19, v25
	v_cndmask_b32_e32 v17, v24, v17, vcc_lo
	v_lshrrev_b32_e32 v24, 8, v19
	v_or_b32_sdwa v28, v38, v36 dst_sel:DWORD dst_unused:UNUSED_PAD src0_sel:WORD_0 src1_sel:DWORD
	v_lshlrev_b16 v41, 8, v41
	v_cndmask_b32_e64 v42, 5, v42, s4
	v_cmp_ne_u32_e64 s4, 16, v25
	v_cndmask_b32_e32 v18, v28, v18, vcc_lo
	v_lshrrev_b32_e32 v28, 24, v19
	v_lshlrev_b16 v42, 8, v42
	v_cndmask_b32_e64 v44, 5, v21, s4
	v_cmp_ne_u32_e64 s4, 18, v25
	v_lshrrev_b32_e32 v40, 16, v18
	v_or_b32_sdwa v39, v44, v41 dst_sel:DWORD dst_unused:UNUSED_PAD src0_sel:BYTE_0 src1_sel:DWORD
	v_cndmask_b32_e64 v43, 5, v43, s4
	v_cmp_ne_u32_e64 s4, 10, v25
	v_or_b32_sdwa v41, v43, v42 dst_sel:WORD_1 dst_unused:UNUSED_PAD src0_sel:BYTE_0 src1_sel:DWORD
	v_cndmask_b32_e64 v37, 5, v37, s4
	v_or_b32_sdwa v27, v39, v41 dst_sel:DWORD dst_unused:UNUSED_PAD src0_sel:WORD_0 src1_sel:DWORD
	v_or_b32_sdwa v16, v37, v16 dst_sel:WORD_1 dst_unused:UNUSED_PAD src0_sel:BYTE_0 src1_sel:DWORD
	v_lshrrev_b32_e32 v37, 16, v19
	v_cndmask_b32_e32 v21, v27, v21, vcc_lo
	v_or_b32_sdwa v16, v29, v16 dst_sel:DWORD dst_unused:UNUSED_PAD src0_sel:WORD_0 src1_sel:DWORD
	v_bfe_u32 v29, v10, 5, 1
	v_lshrrev_b32_e32 v27, 24, v17
	v_lshrrev_b32_e32 v41, 8, v21
	v_cndmask_b32_e32 v16, v16, v20, vcc_lo
	v_add_nc_u32_e32 v23, v25, v29
	v_cndmask_b32_e32 v20, v26, v22, vcc_lo
	v_lshrrev_b32_e32 v26, 8, v17
	v_lshrrev_b32_e32 v29, 16, v17
	v_and_b32_e32 v22, 64, v10
	v_cmp_ne_u32_e32 vcc_lo, 0, v23
	v_cmp_ne_u32_e64 s4, 5, v23
	v_lshrrev_b32_e32 v42, 24, v21
	v_lshrrev_b32_e32 v43, 16, v21
	v_cndmask_b32_e32 v25, 6, v19, vcc_lo
	v_cmp_ne_u32_e32 vcc_lo, 1, v23
	v_cndmask_b32_e32 v24, 6, v24, vcc_lo
	v_cmp_ne_u32_e32 vcc_lo, 21, v23
	v_lshlrev_b16 v24, 8, v24
	v_cndmask_b32_e32 v26, 6, v26, vcc_lo
	v_cmp_ne_u32_e32 vcc_lo, 23, v23
	v_or_b32_sdwa v24, v25, v24 dst_sel:DWORD dst_unused:UNUSED_PAD src0_sel:BYTE_0 src1_sel:DWORD
	v_lshlrev_b16 v26, 8, v26
	v_cndmask_b32_e32 v27, 6, v27, vcc_lo
	v_cmp_ne_u32_e32 vcc_lo, 20, v23
	v_lshrrev_b32_e32 v25, 24, v20
	v_lshlrev_b16 v27, 8, v27
	v_cndmask_b32_e32 v36, 6, v17, vcc_lo
	v_cmp_ne_u32_e32 vcc_lo, 22, v23
	v_or_b32_sdwa v26, v36, v26 dst_sel:DWORD dst_unused:UNUSED_PAD src0_sel:BYTE_0 src1_sel:DWORD
	v_cndmask_b32_e32 v29, 6, v29, vcc_lo
	v_cmp_ne_u32_e32 vcc_lo, 3, v23
	v_lshrrev_b32_e32 v36, 16, v20
	v_or_b32_sdwa v27, v29, v27 dst_sel:WORD_1 dst_unused:UNUSED_PAD src0_sel:BYTE_0 src1_sel:DWORD
	v_cndmask_b32_e32 v28, 6, v28, vcc_lo
	v_cmp_ne_u32_e32 vcc_lo, 2, v23
	v_or_b32_sdwa v26, v26, v27 dst_sel:DWORD dst_unused:UNUSED_PAD src0_sel:WORD_0 src1_sel:DWORD
	v_lshlrev_b16 v28, 8, v28
	v_cndmask_b32_e32 v29, 6, v37, vcc_lo
	v_cmp_eq_u32_e32 vcc_lo, 0, v22
	v_lshrrev_b32_e32 v22, 8, v20
	v_lshrrev_b32_e32 v37, 24, v16
	v_or_b32_sdwa v27, v29, v28 dst_sel:WORD_1 dst_unused:UNUSED_PAD src0_sel:BYTE_0 src1_sel:DWORD
	v_lshrrev_b32_e32 v29, 8, v16
	v_cndmask_b32_e64 v22, 6, v22, s4
	v_cmp_ne_u32_e64 s4, 7, v23
	v_cndmask_b32_e32 v17, v26, v17, vcc_lo
	v_or_b32_sdwa v24, v24, v27 dst_sel:DWORD dst_unused:UNUSED_PAD src0_sel:WORD_0 src1_sel:DWORD
	v_lshlrev_b16 v22, 8, v22
	v_cndmask_b32_e64 v25, 6, v25, s4
	v_cmp_ne_u32_e64 s4, 4, v23
	v_cndmask_b32_e32 v19, v24, v19, vcc_lo
	v_lshrrev_b32_e32 v26, 8, v17
	v_lshlrev_b16 v25, 8, v25
	v_cndmask_b32_e64 v28, 6, v20, s4
	v_cmp_ne_u32_e64 s4, 9, v23
	v_lshrrev_b32_e32 v24, 8, v19
	v_or_b32_sdwa v22, v28, v22 dst_sel:DWORD dst_unused:UNUSED_PAD src0_sel:BYTE_0 src1_sel:DWORD
	v_cndmask_b32_e64 v29, 6, v29, s4
	v_cmp_ne_u32_e64 s4, 6, v23
	v_lshlrev_b16 v29, 8, v29
	v_cndmask_b32_e64 v36, 6, v36, s4
	v_cmp_ne_u32_e64 s4, 8, v23
	v_or_b32_sdwa v25, v36, v25 dst_sel:WORD_1 dst_unused:UNUSED_PAD src0_sel:BYTE_0 src1_sel:DWORD
	v_cndmask_b32_e64 v38, 6, v16, s4
	v_cmp_ne_u32_e64 s4, 11, v23
	v_or_b32_sdwa v22, v22, v25 dst_sel:DWORD dst_unused:UNUSED_PAD src0_sel:WORD_0 src1_sel:DWORD
	v_or_b32_sdwa v28, v38, v29 dst_sel:DWORD dst_unused:UNUSED_PAD src0_sel:BYTE_0 src1_sel:DWORD
	v_cndmask_b32_e64 v37, 6, v37, s4
	v_lshrrev_b32_e32 v29, 8, v18
	v_cmp_ne_u32_e64 s4, 13, v23
	v_lshrrev_b32_e32 v38, 16, v16
	v_cndmask_b32_e32 v20, v22, v20, vcc_lo
	v_lshlrev_b16 v36, 8, v37
	v_lshrrev_b32_e32 v37, 24, v18
	v_cndmask_b32_e64 v29, 6, v29, s4
	v_cmp_ne_u32_e64 s4, 15, v23
	v_and_b32_e32 v22, 0x80, v10
	v_lshlrev_b16 v29, 8, v29
	v_cndmask_b32_e64 v37, 6, v37, s4
	v_cmp_ne_u32_e64 s4, 12, v23
	v_lshlrev_b16 v37, 8, v37
	v_cndmask_b32_e64 v39, 6, v18, s4
	v_cmp_ne_u32_e64 s4, 14, v23
	v_or_b32_sdwa v29, v39, v29 dst_sel:DWORD dst_unused:UNUSED_PAD src0_sel:BYTE_0 src1_sel:DWORD
	v_cndmask_b32_e64 v40, 6, v40, s4
	v_cmp_ne_u32_e64 s4, 17, v23
	v_or_b32_sdwa v37, v40, v37 dst_sel:WORD_1 dst_unused:UNUSED_PAD src0_sel:BYTE_0 src1_sel:DWORD
	v_cndmask_b32_e64 v41, 6, v41, s4
	v_cmp_ne_u32_e64 s4, 19, v23
	v_or_b32_sdwa v27, v29, v37 dst_sel:DWORD dst_unused:UNUSED_PAD src0_sel:WORD_0 src1_sel:DWORD
	v_lshlrev_b16 v41, 8, v41
	v_cndmask_b32_e64 v42, 6, v42, s4
	v_cmp_ne_u32_e64 s4, 16, v23
	v_bfe_u32 v29, v10, 6, 1
	v_cndmask_b32_e32 v18, v27, v18, vcc_lo
	v_lshrrev_b32_e32 v27, 24, v17
	v_lshlrev_b16 v42, 8, v42
	v_cndmask_b32_e64 v44, 6, v21, s4
	v_cmp_ne_u32_e64 s4, 18, v23
	v_lshrrev_b32_e32 v37, 16, v19
	v_lshrrev_b32_e32 v40, 16, v18
	v_or_b32_sdwa v39, v44, v41 dst_sel:DWORD dst_unused:UNUSED_PAD src0_sel:BYTE_0 src1_sel:DWORD
	v_cndmask_b32_e64 v43, 6, v43, s4
	v_cmp_ne_u32_e64 s4, 10, v23
	v_add_nc_u32_e32 v23, v23, v29
	v_lshrrev_b32_e32 v29, 16, v17
	v_or_b32_sdwa v41, v43, v42 dst_sel:WORD_1 dst_unused:UNUSED_PAD src0_sel:BYTE_0 src1_sel:DWORD
	v_cndmask_b32_e64 v38, 6, v38, s4
	v_cmp_ne_u32_e64 s4, 5, v23
	v_or_b32_sdwa v25, v39, v41 dst_sel:DWORD dst_unused:UNUSED_PAD src0_sel:WORD_0 src1_sel:DWORD
	v_or_b32_sdwa v36, v38, v36 dst_sel:WORD_1 dst_unused:UNUSED_PAD src0_sel:BYTE_0 src1_sel:DWORD
	v_cndmask_b32_e32 v21, v25, v21, vcc_lo
	v_or_b32_sdwa v28, v28, v36 dst_sel:DWORD dst_unused:UNUSED_PAD src0_sel:WORD_0 src1_sel:DWORD
	v_lshrrev_b32_e32 v41, 8, v21
	v_cndmask_b32_e32 v16, v28, v16, vcc_lo
	v_cmp_ne_u32_e32 vcc_lo, 0, v23
	v_lshrrev_b32_e32 v28, 24, v19
	v_lshrrev_b32_e32 v42, 24, v21
	;; [unrolled: 1-line block ×3, first 2 shown]
	v_cndmask_b32_e32 v25, 7, v19, vcc_lo
	v_cmp_ne_u32_e32 vcc_lo, 1, v23
	v_cndmask_b32_e32 v24, 7, v24, vcc_lo
	v_cmp_ne_u32_e32 vcc_lo, 21, v23
	v_lshlrev_b16 v24, 8, v24
	v_cndmask_b32_e32 v26, 7, v26, vcc_lo
	v_cmp_ne_u32_e32 vcc_lo, 23, v23
	v_or_b32_sdwa v24, v25, v24 dst_sel:DWORD dst_unused:UNUSED_PAD src0_sel:BYTE_0 src1_sel:DWORD
	v_lshlrev_b16 v26, 8, v26
	v_cndmask_b32_e32 v27, 7, v27, vcc_lo
	v_cmp_ne_u32_e32 vcc_lo, 20, v23
	v_lshrrev_b32_e32 v25, 24, v20
	v_lshlrev_b16 v27, 8, v27
	v_cndmask_b32_e32 v36, 7, v17, vcc_lo
	v_cmp_ne_u32_e32 vcc_lo, 22, v23
	v_or_b32_sdwa v26, v36, v26 dst_sel:DWORD dst_unused:UNUSED_PAD src0_sel:BYTE_0 src1_sel:DWORD
	v_cndmask_b32_e32 v29, 7, v29, vcc_lo
	v_cmp_ne_u32_e32 vcc_lo, 3, v23
	v_lshrrev_b32_e32 v36, 16, v20
	v_or_b32_sdwa v27, v29, v27 dst_sel:WORD_1 dst_unused:UNUSED_PAD src0_sel:BYTE_0 src1_sel:DWORD
	v_cndmask_b32_e32 v28, 7, v28, vcc_lo
	v_cmp_ne_u32_e32 vcc_lo, 2, v23
	v_or_b32_sdwa v26, v26, v27 dst_sel:DWORD dst_unused:UNUSED_PAD src0_sel:WORD_0 src1_sel:DWORD
	v_lshlrev_b16 v28, 8, v28
	v_cndmask_b32_e32 v29, 7, v37, vcc_lo
	v_cmp_eq_u32_e32 vcc_lo, 0, v22
	v_lshrrev_b32_e32 v22, 8, v20
	v_lshrrev_b32_e32 v37, 24, v16
	v_or_b32_sdwa v27, v29, v28 dst_sel:WORD_1 dst_unused:UNUSED_PAD src0_sel:BYTE_0 src1_sel:DWORD
	v_lshrrev_b32_e32 v29, 8, v16
	v_cndmask_b32_e64 v22, 7, v22, s4
	v_cmp_ne_u32_e64 s4, 7, v23
	v_cndmask_b32_e32 v17, v26, v17, vcc_lo
	v_or_b32_sdwa v24, v24, v27 dst_sel:DWORD dst_unused:UNUSED_PAD src0_sel:WORD_0 src1_sel:DWORD
	v_lshlrev_b16 v22, 8, v22
	v_cndmask_b32_e64 v25, 7, v25, s4
	v_cmp_ne_u32_e64 s4, 4, v23
	v_cndmask_b32_e32 v19, v24, v19, vcc_lo
	v_lshrrev_b32_e32 v26, 8, v17
	v_lshlrev_b16 v25, 8, v25
	v_cndmask_b32_e64 v28, 7, v20, s4
	v_cmp_ne_u32_e64 s4, 9, v23
	v_lshrrev_b32_e32 v24, 8, v19
	v_or_b32_sdwa v22, v28, v22 dst_sel:DWORD dst_unused:UNUSED_PAD src0_sel:BYTE_0 src1_sel:DWORD
	v_cndmask_b32_e64 v29, 7, v29, s4
	v_cmp_ne_u32_e64 s4, 6, v23
	v_lshlrev_b16 v29, 8, v29
	v_cndmask_b32_e64 v36, 7, v36, s4
	v_cmp_ne_u32_e64 s4, 8, v23
	v_or_b32_sdwa v25, v36, v25 dst_sel:WORD_1 dst_unused:UNUSED_PAD src0_sel:BYTE_0 src1_sel:DWORD
	v_cndmask_b32_e64 v38, 7, v16, s4
	v_cmp_ne_u32_e64 s4, 11, v23
	v_or_b32_sdwa v22, v22, v25 dst_sel:DWORD dst_unused:UNUSED_PAD src0_sel:WORD_0 src1_sel:DWORD
	v_or_b32_sdwa v28, v38, v29 dst_sel:DWORD dst_unused:UNUSED_PAD src0_sel:BYTE_0 src1_sel:DWORD
	v_cndmask_b32_e64 v37, 7, v37, s4
	v_lshrrev_b32_e32 v29, 8, v18
	v_cmp_ne_u32_e64 s4, 13, v23
	v_lshrrev_b32_e32 v38, 16, v16
	v_cndmask_b32_e32 v20, v22, v20, vcc_lo
	v_lshlrev_b16 v36, 8, v37
	v_lshrrev_b32_e32 v37, 24, v18
	v_cndmask_b32_e64 v29, 7, v29, s4
	v_cmp_ne_u32_e64 s4, 15, v23
	v_and_b32_e32 v22, 0x100, v10
	v_lshlrev_b16 v29, 8, v29
	v_cndmask_b32_e64 v37, 7, v37, s4
	v_cmp_ne_u32_e64 s4, 12, v23
	v_lshlrev_b16 v37, 8, v37
	v_cndmask_b32_e64 v39, 7, v18, s4
	v_cmp_ne_u32_e64 s4, 14, v23
	v_or_b32_sdwa v29, v39, v29 dst_sel:DWORD dst_unused:UNUSED_PAD src0_sel:BYTE_0 src1_sel:DWORD
	v_cndmask_b32_e64 v40, 7, v40, s4
	v_cmp_ne_u32_e64 s4, 17, v23
	v_or_b32_sdwa v37, v40, v37 dst_sel:WORD_1 dst_unused:UNUSED_PAD src0_sel:BYTE_0 src1_sel:DWORD
	v_cndmask_b32_e64 v41, 7, v41, s4
	v_cmp_ne_u32_e64 s4, 19, v23
	v_or_b32_sdwa v27, v29, v37 dst_sel:DWORD dst_unused:UNUSED_PAD src0_sel:WORD_0 src1_sel:DWORD
	v_lshlrev_b16 v41, 8, v41
	v_cndmask_b32_e64 v42, 7, v42, s4
	v_cmp_ne_u32_e64 s4, 16, v23
	v_bfe_u32 v29, v10, 7, 1
	v_cndmask_b32_e32 v18, v27, v18, vcc_lo
	v_lshrrev_b32_e32 v27, 24, v17
	v_lshlrev_b16 v42, 8, v42
	v_cndmask_b32_e64 v44, 7, v21, s4
	v_cmp_ne_u32_e64 s4, 18, v23
	v_lshrrev_b32_e32 v37, 16, v19
	v_lshrrev_b32_e32 v40, 16, v18
	v_or_b32_sdwa v39, v44, v41 dst_sel:DWORD dst_unused:UNUSED_PAD src0_sel:BYTE_0 src1_sel:DWORD
	v_cndmask_b32_e64 v43, 7, v43, s4
	v_cmp_ne_u32_e64 s4, 10, v23
	v_add_nc_u32_e32 v23, v23, v29
	v_lshrrev_b32_e32 v29, 16, v17
	v_or_b32_sdwa v41, v43, v42 dst_sel:WORD_1 dst_unused:UNUSED_PAD src0_sel:BYTE_0 src1_sel:DWORD
	v_cndmask_b32_e64 v38, 7, v38, s4
	v_cmp_ne_u32_e64 s4, 5, v23
	v_or_b32_sdwa v25, v39, v41 dst_sel:DWORD dst_unused:UNUSED_PAD src0_sel:WORD_0 src1_sel:DWORD
	v_or_b32_sdwa v36, v38, v36 dst_sel:WORD_1 dst_unused:UNUSED_PAD src0_sel:BYTE_0 src1_sel:DWORD
	v_cndmask_b32_e32 v21, v25, v21, vcc_lo
	v_or_b32_sdwa v28, v28, v36 dst_sel:DWORD dst_unused:UNUSED_PAD src0_sel:WORD_0 src1_sel:DWORD
	v_lshrrev_b32_e32 v41, 8, v21
	v_cndmask_b32_e32 v16, v28, v16, vcc_lo
	v_cmp_ne_u32_e32 vcc_lo, 0, v23
	v_lshrrev_b32_e32 v28, 24, v19
	v_lshrrev_b32_e32 v42, 24, v21
	;; [unrolled: 1-line block ×3, first 2 shown]
	v_cndmask_b32_e32 v25, 8, v19, vcc_lo
	v_cmp_ne_u32_e32 vcc_lo, 1, v23
	v_cndmask_b32_e32 v24, 8, v24, vcc_lo
	v_cmp_ne_u32_e32 vcc_lo, 21, v23
	v_lshlrev_b16 v24, 8, v24
	v_cndmask_b32_e32 v26, 8, v26, vcc_lo
	v_cmp_ne_u32_e32 vcc_lo, 23, v23
	v_or_b32_sdwa v24, v25, v24 dst_sel:DWORD dst_unused:UNUSED_PAD src0_sel:BYTE_0 src1_sel:DWORD
	v_lshlrev_b16 v26, 8, v26
	v_cndmask_b32_e32 v27, 8, v27, vcc_lo
	v_cmp_ne_u32_e32 vcc_lo, 20, v23
	v_lshrrev_b32_e32 v25, 24, v20
	v_lshlrev_b16 v27, 8, v27
	v_cndmask_b32_e32 v36, 8, v17, vcc_lo
	v_cmp_ne_u32_e32 vcc_lo, 22, v23
	v_or_b32_sdwa v26, v36, v26 dst_sel:DWORD dst_unused:UNUSED_PAD src0_sel:BYTE_0 src1_sel:DWORD
	v_cndmask_b32_e32 v29, 8, v29, vcc_lo
	v_cmp_ne_u32_e32 vcc_lo, 3, v23
	v_lshrrev_b32_e32 v36, 16, v20
	v_or_b32_sdwa v27, v29, v27 dst_sel:WORD_1 dst_unused:UNUSED_PAD src0_sel:BYTE_0 src1_sel:DWORD
	v_cndmask_b32_e32 v28, 8, v28, vcc_lo
	v_cmp_ne_u32_e32 vcc_lo, 2, v23
	v_or_b32_sdwa v26, v26, v27 dst_sel:DWORD dst_unused:UNUSED_PAD src0_sel:WORD_0 src1_sel:DWORD
	v_lshlrev_b16 v28, 8, v28
	v_cndmask_b32_e32 v29, 8, v37, vcc_lo
	v_cmp_eq_u32_e32 vcc_lo, 0, v22
	v_lshrrev_b32_e32 v22, 8, v20
	v_lshrrev_b32_e32 v37, 24, v16
	v_or_b32_sdwa v27, v29, v28 dst_sel:WORD_1 dst_unused:UNUSED_PAD src0_sel:BYTE_0 src1_sel:DWORD
	v_lshrrev_b32_e32 v29, 8, v16
	v_cndmask_b32_e64 v22, 8, v22, s4
	v_cmp_ne_u32_e64 s4, 7, v23
	v_cndmask_b32_e32 v17, v26, v17, vcc_lo
	v_or_b32_sdwa v24, v24, v27 dst_sel:DWORD dst_unused:UNUSED_PAD src0_sel:WORD_0 src1_sel:DWORD
	v_lshlrev_b16 v22, 8, v22
	v_cndmask_b32_e64 v25, 8, v25, s4
	v_cmp_ne_u32_e64 s4, 4, v23
	v_cndmask_b32_e32 v19, v24, v19, vcc_lo
	v_lshrrev_b32_e32 v26, 8, v17
	v_lshlrev_b16 v25, 8, v25
	v_cndmask_b32_e64 v28, 8, v20, s4
	v_cmp_ne_u32_e64 s4, 9, v23
	v_lshrrev_b32_e32 v24, 8, v19
	v_or_b32_sdwa v22, v28, v22 dst_sel:DWORD dst_unused:UNUSED_PAD src0_sel:BYTE_0 src1_sel:DWORD
	v_cndmask_b32_e64 v29, 8, v29, s4
	v_cmp_ne_u32_e64 s4, 6, v23
	v_lshlrev_b16 v29, 8, v29
	v_cndmask_b32_e64 v36, 8, v36, s4
	v_cmp_ne_u32_e64 s4, 8, v23
	v_or_b32_sdwa v25, v36, v25 dst_sel:WORD_1 dst_unused:UNUSED_PAD src0_sel:BYTE_0 src1_sel:DWORD
	v_cndmask_b32_e64 v38, 8, v16, s4
	v_cmp_ne_u32_e64 s4, 11, v23
	v_or_b32_sdwa v22, v22, v25 dst_sel:DWORD dst_unused:UNUSED_PAD src0_sel:WORD_0 src1_sel:DWORD
	v_or_b32_sdwa v28, v38, v29 dst_sel:DWORD dst_unused:UNUSED_PAD src0_sel:BYTE_0 src1_sel:DWORD
	v_cndmask_b32_e64 v37, 8, v37, s4
	v_lshrrev_b32_e32 v29, 8, v18
	v_cmp_ne_u32_e64 s4, 13, v23
	v_lshrrev_b32_e32 v38, 16, v16
	v_cndmask_b32_e32 v20, v22, v20, vcc_lo
	v_lshlrev_b16 v36, 8, v37
	v_lshrrev_b32_e32 v37, 24, v18
	v_cndmask_b32_e64 v29, 8, v29, s4
	v_cmp_ne_u32_e64 s4, 15, v23
	v_and_b32_e32 v22, 0x200, v10
	v_lshlrev_b16 v29, 8, v29
	v_cndmask_b32_e64 v37, 8, v37, s4
	v_cmp_ne_u32_e64 s4, 12, v23
	v_lshlrev_b16 v37, 8, v37
	v_cndmask_b32_e64 v39, 8, v18, s4
	v_cmp_ne_u32_e64 s4, 14, v23
	v_or_b32_sdwa v29, v39, v29 dst_sel:DWORD dst_unused:UNUSED_PAD src0_sel:BYTE_0 src1_sel:DWORD
	v_cndmask_b32_e64 v40, 8, v40, s4
	v_cmp_ne_u32_e64 s4, 17, v23
	v_or_b32_sdwa v37, v40, v37 dst_sel:WORD_1 dst_unused:UNUSED_PAD src0_sel:BYTE_0 src1_sel:DWORD
	v_cndmask_b32_e64 v41, 8, v41, s4
	v_cmp_ne_u32_e64 s4, 19, v23
	v_or_b32_sdwa v27, v29, v37 dst_sel:DWORD dst_unused:UNUSED_PAD src0_sel:WORD_0 src1_sel:DWORD
	v_lshlrev_b16 v41, 8, v41
	v_cndmask_b32_e64 v42, 8, v42, s4
	v_cmp_ne_u32_e64 s4, 16, v23
	v_bfe_u32 v29, v10, 8, 1
	v_cndmask_b32_e32 v18, v27, v18, vcc_lo
	v_lshrrev_b32_e32 v27, 24, v17
	v_lshlrev_b16 v42, 8, v42
	v_cndmask_b32_e64 v44, 8, v21, s4
	v_cmp_ne_u32_e64 s4, 18, v23
	v_lshrrev_b32_e32 v37, 16, v19
	v_lshrrev_b32_e32 v40, 16, v18
	v_or_b32_sdwa v39, v44, v41 dst_sel:DWORD dst_unused:UNUSED_PAD src0_sel:BYTE_0 src1_sel:DWORD
	v_cndmask_b32_e64 v43, 8, v43, s4
	v_cmp_ne_u32_e64 s4, 10, v23
	v_add_nc_u32_e32 v23, v23, v29
	v_lshrrev_b32_e32 v29, 16, v17
	v_or_b32_sdwa v41, v43, v42 dst_sel:WORD_1 dst_unused:UNUSED_PAD src0_sel:BYTE_0 src1_sel:DWORD
	v_cndmask_b32_e64 v38, 8, v38, s4
	v_cmp_ne_u32_e64 s4, 5, v23
	v_or_b32_sdwa v25, v39, v41 dst_sel:DWORD dst_unused:UNUSED_PAD src0_sel:WORD_0 src1_sel:DWORD
	v_or_b32_sdwa v36, v38, v36 dst_sel:WORD_1 dst_unused:UNUSED_PAD src0_sel:BYTE_0 src1_sel:DWORD
	v_cndmask_b32_e32 v21, v25, v21, vcc_lo
	v_or_b32_sdwa v28, v28, v36 dst_sel:DWORD dst_unused:UNUSED_PAD src0_sel:WORD_0 src1_sel:DWORD
	v_lshrrev_b32_e32 v41, 8, v21
	v_cndmask_b32_e32 v16, v28, v16, vcc_lo
	v_cmp_ne_u32_e32 vcc_lo, 0, v23
	v_lshrrev_b32_e32 v28, 24, v19
	v_lshrrev_b32_e32 v42, 24, v21
	;; [unrolled: 1-line block ×3, first 2 shown]
	v_cndmask_b32_e32 v25, 9, v19, vcc_lo
	v_cmp_ne_u32_e32 vcc_lo, 1, v23
	v_cndmask_b32_e32 v24, 9, v24, vcc_lo
	v_cmp_ne_u32_e32 vcc_lo, 21, v23
	v_lshlrev_b16 v24, 8, v24
	v_cndmask_b32_e32 v26, 9, v26, vcc_lo
	v_cmp_ne_u32_e32 vcc_lo, 23, v23
	v_or_b32_sdwa v24, v25, v24 dst_sel:DWORD dst_unused:UNUSED_PAD src0_sel:BYTE_0 src1_sel:DWORD
	v_lshlrev_b16 v26, 8, v26
	v_cndmask_b32_e32 v27, 9, v27, vcc_lo
	v_cmp_ne_u32_e32 vcc_lo, 20, v23
	v_lshrrev_b32_e32 v25, 24, v20
	v_lshlrev_b16 v27, 8, v27
	v_cndmask_b32_e32 v36, 9, v17, vcc_lo
	v_cmp_ne_u32_e32 vcc_lo, 22, v23
	v_or_b32_sdwa v26, v36, v26 dst_sel:DWORD dst_unused:UNUSED_PAD src0_sel:BYTE_0 src1_sel:DWORD
	v_cndmask_b32_e32 v29, 9, v29, vcc_lo
	v_cmp_ne_u32_e32 vcc_lo, 3, v23
	v_lshrrev_b32_e32 v36, 16, v20
	v_or_b32_sdwa v27, v29, v27 dst_sel:WORD_1 dst_unused:UNUSED_PAD src0_sel:BYTE_0 src1_sel:DWORD
	v_cndmask_b32_e32 v28, 9, v28, vcc_lo
	v_cmp_ne_u32_e32 vcc_lo, 2, v23
	v_or_b32_sdwa v26, v26, v27 dst_sel:DWORD dst_unused:UNUSED_PAD src0_sel:WORD_0 src1_sel:DWORD
	v_lshlrev_b16 v28, 8, v28
	v_cndmask_b32_e32 v29, 9, v37, vcc_lo
	v_cmp_eq_u32_e32 vcc_lo, 0, v22
	v_lshrrev_b32_e32 v22, 8, v20
	v_lshrrev_b32_e32 v37, 24, v16
	v_or_b32_sdwa v27, v29, v28 dst_sel:WORD_1 dst_unused:UNUSED_PAD src0_sel:BYTE_0 src1_sel:DWORD
	v_lshrrev_b32_e32 v29, 8, v16
	v_cndmask_b32_e64 v22, 9, v22, s4
	v_cmp_ne_u32_e64 s4, 7, v23
	v_cndmask_b32_e32 v17, v26, v17, vcc_lo
	v_or_b32_sdwa v24, v24, v27 dst_sel:DWORD dst_unused:UNUSED_PAD src0_sel:WORD_0 src1_sel:DWORD
	v_lshlrev_b16 v22, 8, v22
	v_cndmask_b32_e64 v25, 9, v25, s4
	v_cmp_ne_u32_e64 s4, 4, v23
	v_cndmask_b32_e32 v19, v24, v19, vcc_lo
	v_lshrrev_b32_e32 v26, 8, v17
	v_lshlrev_b16 v25, 8, v25
	v_cndmask_b32_e64 v28, 9, v20, s4
	v_cmp_ne_u32_e64 s4, 9, v23
	v_lshrrev_b32_e32 v24, 8, v19
	v_or_b32_sdwa v22, v28, v22 dst_sel:DWORD dst_unused:UNUSED_PAD src0_sel:BYTE_0 src1_sel:DWORD
	v_cndmask_b32_e64 v29, 9, v29, s4
	v_cmp_ne_u32_e64 s4, 6, v23
	v_lshlrev_b16 v29, 8, v29
	v_cndmask_b32_e64 v36, 9, v36, s4
	v_cmp_ne_u32_e64 s4, 8, v23
	v_or_b32_sdwa v25, v36, v25 dst_sel:WORD_1 dst_unused:UNUSED_PAD src0_sel:BYTE_0 src1_sel:DWORD
	v_cndmask_b32_e64 v38, 9, v16, s4
	v_cmp_ne_u32_e64 s4, 11, v23
	v_or_b32_sdwa v22, v22, v25 dst_sel:DWORD dst_unused:UNUSED_PAD src0_sel:WORD_0 src1_sel:DWORD
	v_or_b32_sdwa v28, v38, v29 dst_sel:DWORD dst_unused:UNUSED_PAD src0_sel:BYTE_0 src1_sel:DWORD
	v_cndmask_b32_e64 v37, 9, v37, s4
	v_lshrrev_b32_e32 v29, 8, v18
	v_cmp_ne_u32_e64 s4, 13, v23
	v_lshrrev_b32_e32 v38, 16, v16
	v_cndmask_b32_e32 v20, v22, v20, vcc_lo
	v_lshlrev_b16 v36, 8, v37
	v_lshrrev_b32_e32 v37, 24, v18
	v_cndmask_b32_e64 v29, 9, v29, s4
	v_cmp_ne_u32_e64 s4, 15, v23
	v_and_b32_e32 v22, 0x400, v10
	v_lshlrev_b16 v29, 8, v29
	v_cndmask_b32_e64 v37, 9, v37, s4
	v_cmp_ne_u32_e64 s4, 12, v23
	v_lshlrev_b16 v37, 8, v37
	v_cndmask_b32_e64 v39, 9, v18, s4
	v_cmp_ne_u32_e64 s4, 14, v23
	v_or_b32_sdwa v29, v39, v29 dst_sel:DWORD dst_unused:UNUSED_PAD src0_sel:BYTE_0 src1_sel:DWORD
	v_cndmask_b32_e64 v40, 9, v40, s4
	v_cmp_ne_u32_e64 s4, 17, v23
	v_or_b32_sdwa v37, v40, v37 dst_sel:WORD_1 dst_unused:UNUSED_PAD src0_sel:BYTE_0 src1_sel:DWORD
	v_cndmask_b32_e64 v41, 9, v41, s4
	v_cmp_ne_u32_e64 s4, 19, v23
	v_or_b32_sdwa v27, v29, v37 dst_sel:DWORD dst_unused:UNUSED_PAD src0_sel:WORD_0 src1_sel:DWORD
	v_lshlrev_b16 v41, 8, v41
	v_cndmask_b32_e64 v42, 9, v42, s4
	v_cmp_ne_u32_e64 s4, 16, v23
	v_bfe_u32 v29, v10, 9, 1
	v_cndmask_b32_e32 v18, v27, v18, vcc_lo
	v_lshrrev_b32_e32 v27, 24, v17
	v_lshlrev_b16 v42, 8, v42
	v_cndmask_b32_e64 v44, 9, v21, s4
	v_cmp_ne_u32_e64 s4, 18, v23
	v_lshrrev_b32_e32 v37, 16, v19
	v_lshrrev_b32_e32 v40, 16, v18
	v_or_b32_sdwa v39, v44, v41 dst_sel:DWORD dst_unused:UNUSED_PAD src0_sel:BYTE_0 src1_sel:DWORD
	v_cndmask_b32_e64 v43, 9, v43, s4
	v_cmp_ne_u32_e64 s4, 10, v23
	v_add_nc_u32_e32 v23, v23, v29
	v_lshrrev_b32_e32 v29, 16, v17
	v_or_b32_sdwa v41, v43, v42 dst_sel:WORD_1 dst_unused:UNUSED_PAD src0_sel:BYTE_0 src1_sel:DWORD
	v_cndmask_b32_e64 v38, 9, v38, s4
	v_cmp_ne_u32_e64 s4, 5, v23
	v_or_b32_sdwa v25, v39, v41 dst_sel:DWORD dst_unused:UNUSED_PAD src0_sel:WORD_0 src1_sel:DWORD
	v_or_b32_sdwa v36, v38, v36 dst_sel:WORD_1 dst_unused:UNUSED_PAD src0_sel:BYTE_0 src1_sel:DWORD
	v_cndmask_b32_e32 v21, v25, v21, vcc_lo
	v_or_b32_sdwa v28, v28, v36 dst_sel:DWORD dst_unused:UNUSED_PAD src0_sel:WORD_0 src1_sel:DWORD
	v_lshrrev_b32_e32 v41, 8, v21
	v_cndmask_b32_e32 v16, v28, v16, vcc_lo
	v_cmp_ne_u32_e32 vcc_lo, 0, v23
	v_lshrrev_b32_e32 v28, 24, v19
	v_lshrrev_b32_e32 v42, 24, v21
	;; [unrolled: 1-line block ×3, first 2 shown]
	v_cndmask_b32_e32 v25, 10, v19, vcc_lo
	v_cmp_ne_u32_e32 vcc_lo, 1, v23
	v_cndmask_b32_e32 v24, 10, v24, vcc_lo
	v_cmp_ne_u32_e32 vcc_lo, 21, v23
	v_lshlrev_b16 v24, 8, v24
	v_cndmask_b32_e32 v26, 10, v26, vcc_lo
	v_cmp_ne_u32_e32 vcc_lo, 23, v23
	v_or_b32_sdwa v24, v25, v24 dst_sel:DWORD dst_unused:UNUSED_PAD src0_sel:BYTE_0 src1_sel:DWORD
	v_lshlrev_b16 v26, 8, v26
	v_cndmask_b32_e32 v27, 10, v27, vcc_lo
	v_cmp_ne_u32_e32 vcc_lo, 20, v23
	v_lshrrev_b32_e32 v25, 24, v20
	v_lshlrev_b16 v27, 8, v27
	v_cndmask_b32_e32 v36, 10, v17, vcc_lo
	v_cmp_ne_u32_e32 vcc_lo, 22, v23
	v_or_b32_sdwa v26, v36, v26 dst_sel:DWORD dst_unused:UNUSED_PAD src0_sel:BYTE_0 src1_sel:DWORD
	v_cndmask_b32_e32 v29, 10, v29, vcc_lo
	v_cmp_ne_u32_e32 vcc_lo, 3, v23
	v_lshrrev_b32_e32 v36, 16, v20
	v_or_b32_sdwa v27, v29, v27 dst_sel:WORD_1 dst_unused:UNUSED_PAD src0_sel:BYTE_0 src1_sel:DWORD
	v_cndmask_b32_e32 v28, 10, v28, vcc_lo
	v_cmp_ne_u32_e32 vcc_lo, 2, v23
	v_or_b32_sdwa v26, v26, v27 dst_sel:DWORD dst_unused:UNUSED_PAD src0_sel:WORD_0 src1_sel:DWORD
	v_lshlrev_b16 v28, 8, v28
	v_cndmask_b32_e32 v29, 10, v37, vcc_lo
	v_cmp_eq_u32_e32 vcc_lo, 0, v22
	v_lshrrev_b32_e32 v22, 8, v20
	v_lshrrev_b32_e32 v37, 24, v16
	v_or_b32_sdwa v27, v29, v28 dst_sel:WORD_1 dst_unused:UNUSED_PAD src0_sel:BYTE_0 src1_sel:DWORD
	v_lshrrev_b32_e32 v29, 8, v16
	v_cndmask_b32_e64 v22, 10, v22, s4
	v_cmp_ne_u32_e64 s4, 7, v23
	v_cndmask_b32_e32 v17, v26, v17, vcc_lo
	v_or_b32_sdwa v24, v24, v27 dst_sel:DWORD dst_unused:UNUSED_PAD src0_sel:WORD_0 src1_sel:DWORD
	v_lshlrev_b16 v22, 8, v22
	v_cndmask_b32_e64 v25, 10, v25, s4
	v_cmp_ne_u32_e64 s4, 4, v23
	v_cndmask_b32_e32 v19, v24, v19, vcc_lo
	v_lshrrev_b32_e32 v26, 8, v17
	v_lshlrev_b16 v25, 8, v25
	v_cndmask_b32_e64 v28, 10, v20, s4
	v_cmp_ne_u32_e64 s4, 9, v23
	v_lshrrev_b32_e32 v24, 8, v19
	v_or_b32_sdwa v22, v28, v22 dst_sel:DWORD dst_unused:UNUSED_PAD src0_sel:BYTE_0 src1_sel:DWORD
	v_cndmask_b32_e64 v29, 10, v29, s4
	v_cmp_ne_u32_e64 s4, 6, v23
	v_lshlrev_b16 v29, 8, v29
	v_cndmask_b32_e64 v36, 10, v36, s4
	v_cmp_ne_u32_e64 s4, 8, v23
	v_or_b32_sdwa v25, v36, v25 dst_sel:WORD_1 dst_unused:UNUSED_PAD src0_sel:BYTE_0 src1_sel:DWORD
	v_cndmask_b32_e64 v38, 10, v16, s4
	v_cmp_ne_u32_e64 s4, 11, v23
	v_or_b32_sdwa v22, v22, v25 dst_sel:DWORD dst_unused:UNUSED_PAD src0_sel:WORD_0 src1_sel:DWORD
	v_or_b32_sdwa v28, v38, v29 dst_sel:DWORD dst_unused:UNUSED_PAD src0_sel:BYTE_0 src1_sel:DWORD
	v_cndmask_b32_e64 v37, 10, v37, s4
	v_lshrrev_b32_e32 v29, 8, v18
	v_cmp_ne_u32_e64 s4, 13, v23
	v_lshrrev_b32_e32 v38, 16, v16
	v_cndmask_b32_e32 v20, v22, v20, vcc_lo
	v_lshlrev_b16 v36, 8, v37
	v_lshrrev_b32_e32 v37, 24, v18
	v_cndmask_b32_e64 v29, 10, v29, s4
	v_cmp_ne_u32_e64 s4, 15, v23
	v_and_b32_e32 v22, 0x800, v10
	v_lshlrev_b16 v29, 8, v29
	v_cndmask_b32_e64 v37, 10, v37, s4
	v_cmp_ne_u32_e64 s4, 12, v23
	v_lshlrev_b16 v37, 8, v37
	v_cndmask_b32_e64 v39, 10, v18, s4
	v_cmp_ne_u32_e64 s4, 14, v23
	v_or_b32_sdwa v29, v39, v29 dst_sel:DWORD dst_unused:UNUSED_PAD src0_sel:BYTE_0 src1_sel:DWORD
	v_cndmask_b32_e64 v40, 10, v40, s4
	v_cmp_ne_u32_e64 s4, 17, v23
	v_or_b32_sdwa v37, v40, v37 dst_sel:WORD_1 dst_unused:UNUSED_PAD src0_sel:BYTE_0 src1_sel:DWORD
	v_cndmask_b32_e64 v41, 10, v41, s4
	v_cmp_ne_u32_e64 s4, 19, v23
	v_or_b32_sdwa v27, v29, v37 dst_sel:DWORD dst_unused:UNUSED_PAD src0_sel:WORD_0 src1_sel:DWORD
	v_lshlrev_b16 v41, 8, v41
	v_cndmask_b32_e64 v42, 10, v42, s4
	v_cmp_ne_u32_e64 s4, 16, v23
	v_bfe_u32 v29, v10, 10, 1
	v_cndmask_b32_e32 v18, v27, v18, vcc_lo
	v_lshrrev_b32_e32 v27, 24, v17
	v_lshlrev_b16 v42, 8, v42
	v_cndmask_b32_e64 v44, 10, v21, s4
	v_cmp_ne_u32_e64 s4, 18, v23
	v_lshrrev_b32_e32 v37, 16, v19
	v_lshrrev_b32_e32 v40, 16, v18
	v_or_b32_sdwa v39, v44, v41 dst_sel:DWORD dst_unused:UNUSED_PAD src0_sel:BYTE_0 src1_sel:DWORD
	v_cndmask_b32_e64 v43, 10, v43, s4
	v_cmp_ne_u32_e64 s4, 10, v23
	v_add_nc_u32_e32 v23, v23, v29
	v_lshrrev_b32_e32 v29, 16, v17
	v_or_b32_sdwa v41, v43, v42 dst_sel:WORD_1 dst_unused:UNUSED_PAD src0_sel:BYTE_0 src1_sel:DWORD
	v_cndmask_b32_e64 v38, 10, v38, s4
	v_cmp_ne_u32_e64 s4, 5, v23
	v_or_b32_sdwa v25, v39, v41 dst_sel:DWORD dst_unused:UNUSED_PAD src0_sel:WORD_0 src1_sel:DWORD
	v_or_b32_sdwa v36, v38, v36 dst_sel:WORD_1 dst_unused:UNUSED_PAD src0_sel:BYTE_0 src1_sel:DWORD
	v_cndmask_b32_e32 v21, v25, v21, vcc_lo
	v_or_b32_sdwa v28, v28, v36 dst_sel:DWORD dst_unused:UNUSED_PAD src0_sel:WORD_0 src1_sel:DWORD
	v_lshrrev_b32_e32 v41, 8, v21
	v_cndmask_b32_e32 v16, v28, v16, vcc_lo
	v_cmp_ne_u32_e32 vcc_lo, 0, v23
	v_lshrrev_b32_e32 v28, 24, v19
	v_lshrrev_b32_e32 v42, 24, v21
	;; [unrolled: 1-line block ×3, first 2 shown]
	v_cndmask_b32_e32 v25, 11, v19, vcc_lo
	v_cmp_ne_u32_e32 vcc_lo, 1, v23
	v_cndmask_b32_e32 v24, 11, v24, vcc_lo
	v_cmp_ne_u32_e32 vcc_lo, 21, v23
	v_lshlrev_b16 v24, 8, v24
	v_cndmask_b32_e32 v26, 11, v26, vcc_lo
	v_cmp_ne_u32_e32 vcc_lo, 23, v23
	v_or_b32_sdwa v24, v25, v24 dst_sel:DWORD dst_unused:UNUSED_PAD src0_sel:BYTE_0 src1_sel:DWORD
	v_lshlrev_b16 v26, 8, v26
	v_cndmask_b32_e32 v27, 11, v27, vcc_lo
	v_cmp_ne_u32_e32 vcc_lo, 20, v23
	v_lshrrev_b32_e32 v25, 24, v20
	v_lshlrev_b16 v27, 8, v27
	v_cndmask_b32_e32 v36, 11, v17, vcc_lo
	v_cmp_ne_u32_e32 vcc_lo, 22, v23
	v_or_b32_sdwa v26, v36, v26 dst_sel:DWORD dst_unused:UNUSED_PAD src0_sel:BYTE_0 src1_sel:DWORD
	v_cndmask_b32_e32 v29, 11, v29, vcc_lo
	v_cmp_ne_u32_e32 vcc_lo, 3, v23
	v_lshrrev_b32_e32 v36, 16, v20
	v_or_b32_sdwa v27, v29, v27 dst_sel:WORD_1 dst_unused:UNUSED_PAD src0_sel:BYTE_0 src1_sel:DWORD
	v_cndmask_b32_e32 v28, 11, v28, vcc_lo
	v_cmp_ne_u32_e32 vcc_lo, 2, v23
	v_or_b32_sdwa v26, v26, v27 dst_sel:DWORD dst_unused:UNUSED_PAD src0_sel:WORD_0 src1_sel:DWORD
	v_lshlrev_b16 v28, 8, v28
	v_cndmask_b32_e32 v29, 11, v37, vcc_lo
	v_cmp_eq_u32_e32 vcc_lo, 0, v22
	v_lshrrev_b32_e32 v22, 8, v20
	v_lshrrev_b32_e32 v37, 24, v16
	v_or_b32_sdwa v27, v29, v28 dst_sel:WORD_1 dst_unused:UNUSED_PAD src0_sel:BYTE_0 src1_sel:DWORD
	v_lshrrev_b32_e32 v29, 8, v16
	v_cndmask_b32_e64 v22, 11, v22, s4
	v_cmp_ne_u32_e64 s4, 7, v23
	v_cndmask_b32_e32 v17, v26, v17, vcc_lo
	v_or_b32_sdwa v24, v24, v27 dst_sel:DWORD dst_unused:UNUSED_PAD src0_sel:WORD_0 src1_sel:DWORD
	v_lshlrev_b16 v22, 8, v22
	v_cndmask_b32_e64 v25, 11, v25, s4
	v_cmp_ne_u32_e64 s4, 4, v23
	v_cndmask_b32_e32 v19, v24, v19, vcc_lo
	v_lshrrev_b32_e32 v26, 8, v17
	v_lshlrev_b16 v25, 8, v25
	v_cndmask_b32_e64 v28, 11, v20, s4
	v_cmp_ne_u32_e64 s4, 9, v23
	v_lshrrev_b32_e32 v24, 8, v19
	v_or_b32_sdwa v22, v28, v22 dst_sel:DWORD dst_unused:UNUSED_PAD src0_sel:BYTE_0 src1_sel:DWORD
	v_cndmask_b32_e64 v29, 11, v29, s4
	v_cmp_ne_u32_e64 s4, 6, v23
	v_lshlrev_b16 v29, 8, v29
	v_cndmask_b32_e64 v36, 11, v36, s4
	v_cmp_ne_u32_e64 s4, 8, v23
	v_or_b32_sdwa v25, v36, v25 dst_sel:WORD_1 dst_unused:UNUSED_PAD src0_sel:BYTE_0 src1_sel:DWORD
	v_cndmask_b32_e64 v38, 11, v16, s4
	v_cmp_ne_u32_e64 s4, 11, v23
	v_or_b32_sdwa v22, v22, v25 dst_sel:DWORD dst_unused:UNUSED_PAD src0_sel:WORD_0 src1_sel:DWORD
	v_or_b32_sdwa v28, v38, v29 dst_sel:DWORD dst_unused:UNUSED_PAD src0_sel:BYTE_0 src1_sel:DWORD
	v_cndmask_b32_e64 v37, 11, v37, s4
	v_lshrrev_b32_e32 v29, 8, v18
	v_cmp_ne_u32_e64 s4, 13, v23
	v_lshrrev_b32_e32 v38, 16, v16
	v_cndmask_b32_e32 v20, v22, v20, vcc_lo
	v_lshlrev_b16 v36, 8, v37
	v_lshrrev_b32_e32 v37, 24, v18
	v_cndmask_b32_e64 v29, 11, v29, s4
	v_cmp_ne_u32_e64 s4, 15, v23
	v_and_b32_e32 v22, 0x1000, v10
	v_lshlrev_b16 v29, 8, v29
	v_cndmask_b32_e64 v37, 11, v37, s4
	v_cmp_ne_u32_e64 s4, 12, v23
	v_lshlrev_b16 v37, 8, v37
	v_cndmask_b32_e64 v39, 11, v18, s4
	v_cmp_ne_u32_e64 s4, 14, v23
	v_or_b32_sdwa v29, v39, v29 dst_sel:DWORD dst_unused:UNUSED_PAD src0_sel:BYTE_0 src1_sel:DWORD
	v_cndmask_b32_e64 v40, 11, v40, s4
	v_cmp_ne_u32_e64 s4, 17, v23
	v_or_b32_sdwa v37, v40, v37 dst_sel:WORD_1 dst_unused:UNUSED_PAD src0_sel:BYTE_0 src1_sel:DWORD
	v_cndmask_b32_e64 v41, 11, v41, s4
	v_cmp_ne_u32_e64 s4, 19, v23
	v_or_b32_sdwa v27, v29, v37 dst_sel:DWORD dst_unused:UNUSED_PAD src0_sel:WORD_0 src1_sel:DWORD
	v_lshlrev_b16 v41, 8, v41
	v_cndmask_b32_e64 v42, 11, v42, s4
	v_cmp_ne_u32_e64 s4, 16, v23
	v_bfe_u32 v29, v10, 11, 1
	v_cndmask_b32_e32 v18, v27, v18, vcc_lo
	v_lshrrev_b32_e32 v27, 24, v17
	v_lshlrev_b16 v42, 8, v42
	v_cndmask_b32_e64 v44, 11, v21, s4
	v_cmp_ne_u32_e64 s4, 18, v23
	v_lshrrev_b32_e32 v37, 16, v19
	v_lshrrev_b32_e32 v40, 16, v18
	v_or_b32_sdwa v39, v44, v41 dst_sel:DWORD dst_unused:UNUSED_PAD src0_sel:BYTE_0 src1_sel:DWORD
	v_cndmask_b32_e64 v43, 11, v43, s4
	v_cmp_ne_u32_e64 s4, 10, v23
	v_add_nc_u32_e32 v23, v23, v29
	v_lshrrev_b32_e32 v29, 16, v17
	v_or_b32_sdwa v41, v43, v42 dst_sel:WORD_1 dst_unused:UNUSED_PAD src0_sel:BYTE_0 src1_sel:DWORD
	v_cndmask_b32_e64 v38, 11, v38, s4
	v_cmp_ne_u32_e64 s4, 5, v23
	v_or_b32_sdwa v25, v39, v41 dst_sel:DWORD dst_unused:UNUSED_PAD src0_sel:WORD_0 src1_sel:DWORD
	v_or_b32_sdwa v36, v38, v36 dst_sel:WORD_1 dst_unused:UNUSED_PAD src0_sel:BYTE_0 src1_sel:DWORD
	v_cndmask_b32_e32 v21, v25, v21, vcc_lo
	v_or_b32_sdwa v28, v28, v36 dst_sel:DWORD dst_unused:UNUSED_PAD src0_sel:WORD_0 src1_sel:DWORD
	v_lshrrev_b32_e32 v41, 8, v21
	v_cndmask_b32_e32 v16, v28, v16, vcc_lo
	v_cmp_ne_u32_e32 vcc_lo, 0, v23
	v_lshrrev_b32_e32 v28, 24, v19
	v_lshrrev_b32_e32 v42, 24, v21
	;; [unrolled: 1-line block ×3, first 2 shown]
	v_cndmask_b32_e32 v25, 12, v19, vcc_lo
	v_cmp_ne_u32_e32 vcc_lo, 1, v23
	v_cndmask_b32_e32 v24, 12, v24, vcc_lo
	v_cmp_ne_u32_e32 vcc_lo, 21, v23
	v_lshlrev_b16 v24, 8, v24
	v_cndmask_b32_e32 v26, 12, v26, vcc_lo
	v_cmp_ne_u32_e32 vcc_lo, 23, v23
	v_or_b32_sdwa v24, v25, v24 dst_sel:DWORD dst_unused:UNUSED_PAD src0_sel:BYTE_0 src1_sel:DWORD
	v_lshlrev_b16 v26, 8, v26
	v_cndmask_b32_e32 v27, 12, v27, vcc_lo
	v_cmp_ne_u32_e32 vcc_lo, 20, v23
	v_lshrrev_b32_e32 v25, 24, v20
	v_lshlrev_b16 v27, 8, v27
	v_cndmask_b32_e32 v36, 12, v17, vcc_lo
	v_cmp_ne_u32_e32 vcc_lo, 22, v23
	v_or_b32_sdwa v26, v36, v26 dst_sel:DWORD dst_unused:UNUSED_PAD src0_sel:BYTE_0 src1_sel:DWORD
	v_cndmask_b32_e32 v29, 12, v29, vcc_lo
	v_cmp_ne_u32_e32 vcc_lo, 3, v23
	v_lshrrev_b32_e32 v36, 16, v20
	v_or_b32_sdwa v27, v29, v27 dst_sel:WORD_1 dst_unused:UNUSED_PAD src0_sel:BYTE_0 src1_sel:DWORD
	v_cndmask_b32_e32 v28, 12, v28, vcc_lo
	v_cmp_ne_u32_e32 vcc_lo, 2, v23
	v_or_b32_sdwa v26, v26, v27 dst_sel:DWORD dst_unused:UNUSED_PAD src0_sel:WORD_0 src1_sel:DWORD
	v_lshlrev_b16 v28, 8, v28
	v_cndmask_b32_e32 v29, 12, v37, vcc_lo
	v_cmp_eq_u32_e32 vcc_lo, 0, v22
	v_lshrrev_b32_e32 v22, 8, v20
	v_lshrrev_b32_e32 v37, 24, v16
	v_or_b32_sdwa v27, v29, v28 dst_sel:WORD_1 dst_unused:UNUSED_PAD src0_sel:BYTE_0 src1_sel:DWORD
	v_lshrrev_b32_e32 v29, 8, v16
	v_cndmask_b32_e64 v22, 12, v22, s4
	v_cmp_ne_u32_e64 s4, 7, v23
	v_cndmask_b32_e32 v17, v26, v17, vcc_lo
	v_or_b32_sdwa v24, v24, v27 dst_sel:DWORD dst_unused:UNUSED_PAD src0_sel:WORD_0 src1_sel:DWORD
	v_lshlrev_b16 v22, 8, v22
	v_cndmask_b32_e64 v25, 12, v25, s4
	v_cmp_ne_u32_e64 s4, 4, v23
	v_cndmask_b32_e32 v19, v24, v19, vcc_lo
	v_lshrrev_b32_e32 v26, 8, v17
	v_lshlrev_b16 v25, 8, v25
	v_cndmask_b32_e64 v28, 12, v20, s4
	v_cmp_ne_u32_e64 s4, 9, v23
	v_lshrrev_b32_e32 v24, 8, v19
	v_or_b32_sdwa v22, v28, v22 dst_sel:DWORD dst_unused:UNUSED_PAD src0_sel:BYTE_0 src1_sel:DWORD
	v_cndmask_b32_e64 v29, 12, v29, s4
	v_cmp_ne_u32_e64 s4, 6, v23
	v_lshlrev_b16 v29, 8, v29
	v_cndmask_b32_e64 v36, 12, v36, s4
	v_cmp_ne_u32_e64 s4, 8, v23
	v_or_b32_sdwa v25, v36, v25 dst_sel:WORD_1 dst_unused:UNUSED_PAD src0_sel:BYTE_0 src1_sel:DWORD
	v_cndmask_b32_e64 v38, 12, v16, s4
	v_cmp_ne_u32_e64 s4, 11, v23
	v_or_b32_sdwa v22, v22, v25 dst_sel:DWORD dst_unused:UNUSED_PAD src0_sel:WORD_0 src1_sel:DWORD
	v_or_b32_sdwa v28, v38, v29 dst_sel:DWORD dst_unused:UNUSED_PAD src0_sel:BYTE_0 src1_sel:DWORD
	v_cndmask_b32_e64 v37, 12, v37, s4
	v_lshrrev_b32_e32 v29, 8, v18
	v_cmp_ne_u32_e64 s4, 13, v23
	v_lshrrev_b32_e32 v38, 16, v16
	v_cndmask_b32_e32 v20, v22, v20, vcc_lo
	v_lshlrev_b16 v36, 8, v37
	v_lshrrev_b32_e32 v37, 24, v18
	v_cndmask_b32_e64 v29, 12, v29, s4
	v_cmp_ne_u32_e64 s4, 15, v23
	v_and_b32_e32 v22, 0x2000, v10
	v_lshlrev_b16 v29, 8, v29
	v_cndmask_b32_e64 v37, 12, v37, s4
	v_cmp_ne_u32_e64 s4, 12, v23
	v_lshlrev_b16 v37, 8, v37
	v_cndmask_b32_e64 v39, 12, v18, s4
	v_cmp_ne_u32_e64 s4, 14, v23
	v_or_b32_sdwa v29, v39, v29 dst_sel:DWORD dst_unused:UNUSED_PAD src0_sel:BYTE_0 src1_sel:DWORD
	v_cndmask_b32_e64 v40, 12, v40, s4
	v_cmp_ne_u32_e64 s4, 17, v23
	v_or_b32_sdwa v37, v40, v37 dst_sel:WORD_1 dst_unused:UNUSED_PAD src0_sel:BYTE_0 src1_sel:DWORD
	v_cndmask_b32_e64 v41, 12, v41, s4
	v_cmp_ne_u32_e64 s4, 19, v23
	v_or_b32_sdwa v27, v29, v37 dst_sel:DWORD dst_unused:UNUSED_PAD src0_sel:WORD_0 src1_sel:DWORD
	v_lshlrev_b16 v41, 8, v41
	v_cndmask_b32_e64 v42, 12, v42, s4
	v_cmp_ne_u32_e64 s4, 16, v23
	v_bfe_u32 v29, v10, 12, 1
	v_cndmask_b32_e32 v18, v27, v18, vcc_lo
	v_lshrrev_b32_e32 v27, 24, v17
	v_lshlrev_b16 v42, 8, v42
	v_cndmask_b32_e64 v44, 12, v21, s4
	v_cmp_ne_u32_e64 s4, 18, v23
	v_lshrrev_b32_e32 v37, 16, v19
	v_lshrrev_b32_e32 v40, 16, v18
	v_or_b32_sdwa v39, v44, v41 dst_sel:DWORD dst_unused:UNUSED_PAD src0_sel:BYTE_0 src1_sel:DWORD
	v_cndmask_b32_e64 v43, 12, v43, s4
	v_cmp_ne_u32_e64 s4, 10, v23
	v_add_nc_u32_e32 v23, v23, v29
	v_lshrrev_b32_e32 v29, 16, v17
	v_or_b32_sdwa v41, v43, v42 dst_sel:WORD_1 dst_unused:UNUSED_PAD src0_sel:BYTE_0 src1_sel:DWORD
	v_cndmask_b32_e64 v38, 12, v38, s4
	v_cmp_ne_u32_e64 s4, 5, v23
	v_or_b32_sdwa v25, v39, v41 dst_sel:DWORD dst_unused:UNUSED_PAD src0_sel:WORD_0 src1_sel:DWORD
	v_or_b32_sdwa v36, v38, v36 dst_sel:WORD_1 dst_unused:UNUSED_PAD src0_sel:BYTE_0 src1_sel:DWORD
	v_cndmask_b32_e32 v21, v25, v21, vcc_lo
	v_or_b32_sdwa v28, v28, v36 dst_sel:DWORD dst_unused:UNUSED_PAD src0_sel:WORD_0 src1_sel:DWORD
	v_lshrrev_b32_e32 v41, 8, v21
	v_cndmask_b32_e32 v16, v28, v16, vcc_lo
	v_cmp_ne_u32_e32 vcc_lo, 0, v23
	v_lshrrev_b32_e32 v28, 24, v19
	v_lshrrev_b32_e32 v42, 24, v21
	;; [unrolled: 1-line block ×3, first 2 shown]
	v_cndmask_b32_e32 v25, 13, v19, vcc_lo
	v_cmp_ne_u32_e32 vcc_lo, 1, v23
	v_cndmask_b32_e32 v24, 13, v24, vcc_lo
	v_cmp_ne_u32_e32 vcc_lo, 21, v23
	v_lshlrev_b16 v24, 8, v24
	v_cndmask_b32_e32 v26, 13, v26, vcc_lo
	v_cmp_ne_u32_e32 vcc_lo, 23, v23
	v_or_b32_sdwa v24, v25, v24 dst_sel:DWORD dst_unused:UNUSED_PAD src0_sel:BYTE_0 src1_sel:DWORD
	v_lshlrev_b16 v26, 8, v26
	v_cndmask_b32_e32 v27, 13, v27, vcc_lo
	v_cmp_ne_u32_e32 vcc_lo, 20, v23
	v_lshrrev_b32_e32 v25, 24, v20
	v_lshlrev_b16 v27, 8, v27
	v_cndmask_b32_e32 v36, 13, v17, vcc_lo
	v_cmp_ne_u32_e32 vcc_lo, 22, v23
	v_or_b32_sdwa v26, v36, v26 dst_sel:DWORD dst_unused:UNUSED_PAD src0_sel:BYTE_0 src1_sel:DWORD
	v_cndmask_b32_e32 v29, 13, v29, vcc_lo
	v_cmp_ne_u32_e32 vcc_lo, 3, v23
	v_lshrrev_b32_e32 v36, 16, v20
	v_or_b32_sdwa v27, v29, v27 dst_sel:WORD_1 dst_unused:UNUSED_PAD src0_sel:BYTE_0 src1_sel:DWORD
	v_cndmask_b32_e32 v28, 13, v28, vcc_lo
	v_cmp_ne_u32_e32 vcc_lo, 2, v23
	v_or_b32_sdwa v26, v26, v27 dst_sel:DWORD dst_unused:UNUSED_PAD src0_sel:WORD_0 src1_sel:DWORD
	v_lshlrev_b16 v28, 8, v28
	v_cndmask_b32_e32 v29, 13, v37, vcc_lo
	v_cmp_eq_u32_e32 vcc_lo, 0, v22
	v_lshrrev_b32_e32 v22, 8, v20
	v_lshrrev_b32_e32 v37, 24, v16
	v_or_b32_sdwa v27, v29, v28 dst_sel:WORD_1 dst_unused:UNUSED_PAD src0_sel:BYTE_0 src1_sel:DWORD
	v_lshrrev_b32_e32 v29, 8, v16
	v_cndmask_b32_e64 v22, 13, v22, s4
	v_cmp_ne_u32_e64 s4, 7, v23
	v_cndmask_b32_e32 v17, v26, v17, vcc_lo
	v_or_b32_sdwa v24, v24, v27 dst_sel:DWORD dst_unused:UNUSED_PAD src0_sel:WORD_0 src1_sel:DWORD
	v_lshlrev_b16 v22, 8, v22
	v_cndmask_b32_e64 v25, 13, v25, s4
	v_cmp_ne_u32_e64 s4, 4, v23
	v_cndmask_b32_e32 v19, v24, v19, vcc_lo
	v_lshrrev_b32_e32 v26, 8, v17
	v_lshlrev_b16 v25, 8, v25
	v_cndmask_b32_e64 v28, 13, v20, s4
	v_cmp_ne_u32_e64 s4, 9, v23
	v_lshrrev_b32_e32 v24, 8, v19
	v_or_b32_sdwa v22, v28, v22 dst_sel:DWORD dst_unused:UNUSED_PAD src0_sel:BYTE_0 src1_sel:DWORD
	v_cndmask_b32_e64 v29, 13, v29, s4
	v_cmp_ne_u32_e64 s4, 6, v23
	v_lshlrev_b16 v29, 8, v29
	v_cndmask_b32_e64 v36, 13, v36, s4
	v_cmp_ne_u32_e64 s4, 8, v23
	v_or_b32_sdwa v25, v36, v25 dst_sel:WORD_1 dst_unused:UNUSED_PAD src0_sel:BYTE_0 src1_sel:DWORD
	v_cndmask_b32_e64 v38, 13, v16, s4
	v_cmp_ne_u32_e64 s4, 11, v23
	v_or_b32_sdwa v22, v22, v25 dst_sel:DWORD dst_unused:UNUSED_PAD src0_sel:WORD_0 src1_sel:DWORD
	v_or_b32_sdwa v28, v38, v29 dst_sel:DWORD dst_unused:UNUSED_PAD src0_sel:BYTE_0 src1_sel:DWORD
	v_cndmask_b32_e64 v37, 13, v37, s4
	v_lshrrev_b32_e32 v29, 8, v18
	v_cmp_ne_u32_e64 s4, 13, v23
	v_lshrrev_b32_e32 v38, 16, v16
	v_cndmask_b32_e32 v20, v22, v20, vcc_lo
	v_lshlrev_b16 v36, 8, v37
	v_lshrrev_b32_e32 v37, 24, v18
	v_cndmask_b32_e64 v29, 13, v29, s4
	v_cmp_ne_u32_e64 s4, 15, v23
	v_and_b32_e32 v22, 0x4000, v10
	v_lshlrev_b16 v29, 8, v29
	v_cndmask_b32_e64 v37, 13, v37, s4
	v_cmp_ne_u32_e64 s4, 12, v23
	v_lshlrev_b16 v37, 8, v37
	v_cndmask_b32_e64 v39, 13, v18, s4
	v_cmp_ne_u32_e64 s4, 14, v23
	v_or_b32_sdwa v29, v39, v29 dst_sel:DWORD dst_unused:UNUSED_PAD src0_sel:BYTE_0 src1_sel:DWORD
	v_cndmask_b32_e64 v40, 13, v40, s4
	v_cmp_ne_u32_e64 s4, 17, v23
	v_or_b32_sdwa v37, v40, v37 dst_sel:WORD_1 dst_unused:UNUSED_PAD src0_sel:BYTE_0 src1_sel:DWORD
	v_cndmask_b32_e64 v41, 13, v41, s4
	v_cmp_ne_u32_e64 s4, 19, v23
	v_or_b32_sdwa v27, v29, v37 dst_sel:DWORD dst_unused:UNUSED_PAD src0_sel:WORD_0 src1_sel:DWORD
	v_lshlrev_b16 v41, 8, v41
	v_cndmask_b32_e64 v42, 13, v42, s4
	v_cmp_ne_u32_e64 s4, 16, v23
	v_bfe_u32 v29, v10, 13, 1
	v_cndmask_b32_e32 v18, v27, v18, vcc_lo
	v_lshrrev_b32_e32 v27, 24, v17
	v_lshlrev_b16 v42, 8, v42
	v_cndmask_b32_e64 v44, 13, v21, s4
	v_cmp_ne_u32_e64 s4, 18, v23
	v_lshrrev_b32_e32 v37, 16, v19
	v_lshrrev_b32_e32 v40, 16, v18
	v_or_b32_sdwa v39, v44, v41 dst_sel:DWORD dst_unused:UNUSED_PAD src0_sel:BYTE_0 src1_sel:DWORD
	v_cndmask_b32_e64 v43, 13, v43, s4
	v_cmp_ne_u32_e64 s4, 10, v23
	v_add_nc_u32_e32 v23, v23, v29
	v_lshrrev_b32_e32 v29, 16, v17
	v_or_b32_sdwa v41, v43, v42 dst_sel:WORD_1 dst_unused:UNUSED_PAD src0_sel:BYTE_0 src1_sel:DWORD
	v_cndmask_b32_e64 v38, 13, v38, s4
	v_cmp_ne_u32_e64 s4, 5, v23
	v_or_b32_sdwa v25, v39, v41 dst_sel:DWORD dst_unused:UNUSED_PAD src0_sel:WORD_0 src1_sel:DWORD
	v_or_b32_sdwa v36, v38, v36 dst_sel:WORD_1 dst_unused:UNUSED_PAD src0_sel:BYTE_0 src1_sel:DWORD
	v_cndmask_b32_e32 v21, v25, v21, vcc_lo
	v_or_b32_sdwa v28, v28, v36 dst_sel:DWORD dst_unused:UNUSED_PAD src0_sel:WORD_0 src1_sel:DWORD
	v_lshrrev_b32_e32 v41, 8, v21
	v_cndmask_b32_e32 v16, v28, v16, vcc_lo
	v_cmp_ne_u32_e32 vcc_lo, 0, v23
	v_lshrrev_b32_e32 v28, 24, v19
	v_lshrrev_b32_e32 v42, 24, v21
	v_lshrrev_b32_e32 v43, 16, v21
	v_cndmask_b32_e32 v25, 14, v19, vcc_lo
	v_cmp_ne_u32_e32 vcc_lo, 1, v23
	v_cndmask_b32_e32 v24, 14, v24, vcc_lo
	v_cmp_ne_u32_e32 vcc_lo, 21, v23
	v_lshlrev_b16 v24, 8, v24
	v_cndmask_b32_e32 v26, 14, v26, vcc_lo
	v_cmp_ne_u32_e32 vcc_lo, 23, v23
	v_or_b32_sdwa v24, v25, v24 dst_sel:DWORD dst_unused:UNUSED_PAD src0_sel:BYTE_0 src1_sel:DWORD
	v_lshlrev_b16 v26, 8, v26
	v_cndmask_b32_e32 v27, 14, v27, vcc_lo
	v_cmp_ne_u32_e32 vcc_lo, 20, v23
	v_lshrrev_b32_e32 v25, 24, v20
	v_lshlrev_b16 v27, 8, v27
	v_cndmask_b32_e32 v36, 14, v17, vcc_lo
	v_cmp_ne_u32_e32 vcc_lo, 22, v23
	v_or_b32_sdwa v26, v36, v26 dst_sel:DWORD dst_unused:UNUSED_PAD src0_sel:BYTE_0 src1_sel:DWORD
	v_cndmask_b32_e32 v29, 14, v29, vcc_lo
	v_cmp_ne_u32_e32 vcc_lo, 3, v23
	v_lshrrev_b32_e32 v36, 16, v20
	v_or_b32_sdwa v27, v29, v27 dst_sel:WORD_1 dst_unused:UNUSED_PAD src0_sel:BYTE_0 src1_sel:DWORD
	v_cndmask_b32_e32 v28, 14, v28, vcc_lo
	v_cmp_ne_u32_e32 vcc_lo, 2, v23
	v_or_b32_sdwa v26, v26, v27 dst_sel:DWORD dst_unused:UNUSED_PAD src0_sel:WORD_0 src1_sel:DWORD
	v_lshlrev_b16 v28, 8, v28
	v_cndmask_b32_e32 v29, 14, v37, vcc_lo
	v_cmp_eq_u32_e32 vcc_lo, 0, v22
	v_lshrrev_b32_e32 v22, 8, v20
	v_lshrrev_b32_e32 v37, 24, v16
	v_or_b32_sdwa v27, v29, v28 dst_sel:WORD_1 dst_unused:UNUSED_PAD src0_sel:BYTE_0 src1_sel:DWORD
	v_lshrrev_b32_e32 v29, 8, v16
	v_cndmask_b32_e64 v22, 14, v22, s4
	v_cmp_ne_u32_e64 s4, 7, v23
	v_cndmask_b32_e32 v17, v26, v17, vcc_lo
	v_or_b32_sdwa v24, v24, v27 dst_sel:DWORD dst_unused:UNUSED_PAD src0_sel:WORD_0 src1_sel:DWORD
	v_lshlrev_b16 v22, 8, v22
	v_cndmask_b32_e64 v25, 14, v25, s4
	v_cmp_ne_u32_e64 s4, 4, v23
	v_cndmask_b32_e32 v19, v24, v19, vcc_lo
	v_lshrrev_b32_e32 v26, 8, v17
	v_lshlrev_b16 v25, 8, v25
	v_cndmask_b32_e64 v28, 14, v20, s4
	v_cmp_ne_u32_e64 s4, 9, v23
	v_lshrrev_b32_e32 v24, 8, v19
	v_or_b32_sdwa v22, v28, v22 dst_sel:DWORD dst_unused:UNUSED_PAD src0_sel:BYTE_0 src1_sel:DWORD
	v_cndmask_b32_e64 v29, 14, v29, s4
	v_cmp_ne_u32_e64 s4, 6, v23
	v_lshlrev_b16 v29, 8, v29
	v_cndmask_b32_e64 v36, 14, v36, s4
	v_cmp_ne_u32_e64 s4, 8, v23
	v_or_b32_sdwa v25, v36, v25 dst_sel:WORD_1 dst_unused:UNUSED_PAD src0_sel:BYTE_0 src1_sel:DWORD
	v_cndmask_b32_e64 v38, 14, v16, s4
	v_cmp_ne_u32_e64 s4, 11, v23
	v_or_b32_sdwa v22, v22, v25 dst_sel:DWORD dst_unused:UNUSED_PAD src0_sel:WORD_0 src1_sel:DWORD
	v_or_b32_sdwa v28, v38, v29 dst_sel:DWORD dst_unused:UNUSED_PAD src0_sel:BYTE_0 src1_sel:DWORD
	v_cndmask_b32_e64 v37, 14, v37, s4
	v_lshrrev_b32_e32 v29, 8, v18
	v_cmp_ne_u32_e64 s4, 13, v23
	v_lshrrev_b32_e32 v38, 16, v16
	v_cndmask_b32_e32 v20, v22, v20, vcc_lo
	v_lshlrev_b16 v36, 8, v37
	v_lshrrev_b32_e32 v37, 24, v18
	v_cndmask_b32_e64 v29, 14, v29, s4
	v_cmp_ne_u32_e64 s4, 15, v23
	v_and_b32_e32 v22, 0x8000, v10
	v_lshlrev_b16 v29, 8, v29
	v_cndmask_b32_e64 v37, 14, v37, s4
	v_cmp_ne_u32_e64 s4, 12, v23
	v_lshlrev_b16 v37, 8, v37
	v_cndmask_b32_e64 v39, 14, v18, s4
	v_cmp_ne_u32_e64 s4, 14, v23
	v_or_b32_sdwa v29, v39, v29 dst_sel:DWORD dst_unused:UNUSED_PAD src0_sel:BYTE_0 src1_sel:DWORD
	v_cndmask_b32_e64 v40, 14, v40, s4
	v_cmp_ne_u32_e64 s4, 17, v23
	v_or_b32_sdwa v37, v40, v37 dst_sel:WORD_1 dst_unused:UNUSED_PAD src0_sel:BYTE_0 src1_sel:DWORD
	v_cndmask_b32_e64 v41, 14, v41, s4
	v_cmp_ne_u32_e64 s4, 19, v23
	v_or_b32_sdwa v27, v29, v37 dst_sel:DWORD dst_unused:UNUSED_PAD src0_sel:WORD_0 src1_sel:DWORD
	v_lshlrev_b16 v41, 8, v41
	v_cndmask_b32_e64 v42, 14, v42, s4
	v_cmp_ne_u32_e64 s4, 16, v23
	v_bfe_u32 v29, v10, 14, 1
	v_cndmask_b32_e32 v18, v27, v18, vcc_lo
	v_lshrrev_b32_e32 v27, 24, v17
	v_lshlrev_b16 v42, 8, v42
	v_cndmask_b32_e64 v44, 14, v21, s4
	v_cmp_ne_u32_e64 s4, 18, v23
	v_lshrrev_b32_e32 v37, 16, v19
	v_lshrrev_b32_e32 v40, 16, v18
	v_or_b32_sdwa v39, v44, v41 dst_sel:DWORD dst_unused:UNUSED_PAD src0_sel:BYTE_0 src1_sel:DWORD
	v_cndmask_b32_e64 v43, 14, v43, s4
	v_cmp_ne_u32_e64 s4, 10, v23
	v_add_nc_u32_e32 v23, v23, v29
	v_lshrrev_b32_e32 v29, 16, v17
	v_or_b32_sdwa v41, v43, v42 dst_sel:WORD_1 dst_unused:UNUSED_PAD src0_sel:BYTE_0 src1_sel:DWORD
	v_cndmask_b32_e64 v38, 14, v38, s4
	v_cmp_ne_u32_e64 s4, 5, v23
	v_or_b32_sdwa v25, v39, v41 dst_sel:DWORD dst_unused:UNUSED_PAD src0_sel:WORD_0 src1_sel:DWORD
	v_or_b32_sdwa v36, v38, v36 dst_sel:WORD_1 dst_unused:UNUSED_PAD src0_sel:BYTE_0 src1_sel:DWORD
	v_cndmask_b32_e32 v21, v25, v21, vcc_lo
	v_or_b32_sdwa v28, v28, v36 dst_sel:DWORD dst_unused:UNUSED_PAD src0_sel:WORD_0 src1_sel:DWORD
	v_lshrrev_b32_e32 v41, 8, v21
	v_cndmask_b32_e32 v16, v28, v16, vcc_lo
	v_cmp_ne_u32_e32 vcc_lo, 0, v23
	v_lshrrev_b32_e32 v28, 24, v19
	v_lshrrev_b32_e32 v42, 24, v21
	;; [unrolled: 1-line block ×3, first 2 shown]
	v_cndmask_b32_e32 v25, 15, v19, vcc_lo
	v_cmp_ne_u32_e32 vcc_lo, 1, v23
	v_cndmask_b32_e32 v24, 15, v24, vcc_lo
	v_cmp_ne_u32_e32 vcc_lo, 21, v23
	v_lshlrev_b16 v24, 8, v24
	v_cndmask_b32_e32 v26, 15, v26, vcc_lo
	v_cmp_ne_u32_e32 vcc_lo, 23, v23
	v_or_b32_sdwa v24, v25, v24 dst_sel:DWORD dst_unused:UNUSED_PAD src0_sel:BYTE_0 src1_sel:DWORD
	v_lshlrev_b16 v26, 8, v26
	v_cndmask_b32_e32 v27, 15, v27, vcc_lo
	v_cmp_ne_u32_e32 vcc_lo, 20, v23
	v_lshrrev_b32_e32 v25, 24, v20
	v_lshlrev_b16 v27, 8, v27
	v_cndmask_b32_e32 v36, 15, v17, vcc_lo
	v_cmp_ne_u32_e32 vcc_lo, 22, v23
	v_or_b32_sdwa v26, v36, v26 dst_sel:DWORD dst_unused:UNUSED_PAD src0_sel:BYTE_0 src1_sel:DWORD
	v_cndmask_b32_e32 v29, 15, v29, vcc_lo
	v_cmp_ne_u32_e32 vcc_lo, 3, v23
	v_lshrrev_b32_e32 v36, 16, v20
	v_or_b32_sdwa v27, v29, v27 dst_sel:WORD_1 dst_unused:UNUSED_PAD src0_sel:BYTE_0 src1_sel:DWORD
	v_cndmask_b32_e32 v28, 15, v28, vcc_lo
	v_cmp_ne_u32_e32 vcc_lo, 2, v23
	v_or_b32_sdwa v26, v26, v27 dst_sel:DWORD dst_unused:UNUSED_PAD src0_sel:WORD_0 src1_sel:DWORD
	v_lshlrev_b16 v28, 8, v28
	v_cndmask_b32_e32 v29, 15, v37, vcc_lo
	v_cmp_eq_u32_e32 vcc_lo, 0, v22
	v_lshrrev_b32_e32 v22, 8, v20
	v_lshrrev_b32_e32 v37, 24, v16
	v_or_b32_sdwa v27, v29, v28 dst_sel:WORD_1 dst_unused:UNUSED_PAD src0_sel:BYTE_0 src1_sel:DWORD
	v_lshrrev_b32_e32 v29, 8, v16
	v_cndmask_b32_e64 v22, 15, v22, s4
	v_cmp_ne_u32_e64 s4, 7, v23
	v_cndmask_b32_e32 v17, v26, v17, vcc_lo
	v_or_b32_sdwa v24, v24, v27 dst_sel:DWORD dst_unused:UNUSED_PAD src0_sel:WORD_0 src1_sel:DWORD
	v_lshlrev_b16 v22, 8, v22
	v_cndmask_b32_e64 v25, 15, v25, s4
	v_cmp_ne_u32_e64 s4, 4, v23
	v_cndmask_b32_e32 v19, v24, v19, vcc_lo
	v_lshrrev_b32_e32 v26, 8, v17
	v_lshlrev_b16 v25, 8, v25
	v_cndmask_b32_e64 v28, 15, v20, s4
	v_cmp_ne_u32_e64 s4, 9, v23
	v_lshrrev_b32_e32 v24, 8, v19
	v_or_b32_sdwa v22, v28, v22 dst_sel:DWORD dst_unused:UNUSED_PAD src0_sel:BYTE_0 src1_sel:DWORD
	v_cndmask_b32_e64 v29, 15, v29, s4
	v_cmp_ne_u32_e64 s4, 6, v23
	v_lshlrev_b16 v29, 8, v29
	v_cndmask_b32_e64 v36, 15, v36, s4
	v_cmp_ne_u32_e64 s4, 8, v23
	v_or_b32_sdwa v25, v36, v25 dst_sel:WORD_1 dst_unused:UNUSED_PAD src0_sel:BYTE_0 src1_sel:DWORD
	v_cndmask_b32_e64 v38, 15, v16, s4
	v_cmp_ne_u32_e64 s4, 11, v23
	v_or_b32_sdwa v22, v22, v25 dst_sel:DWORD dst_unused:UNUSED_PAD src0_sel:WORD_0 src1_sel:DWORD
	v_or_b32_sdwa v28, v38, v29 dst_sel:DWORD dst_unused:UNUSED_PAD src0_sel:BYTE_0 src1_sel:DWORD
	v_cndmask_b32_e64 v37, 15, v37, s4
	v_lshrrev_b32_e32 v29, 8, v18
	v_cmp_ne_u32_e64 s4, 13, v23
	v_lshrrev_b32_e32 v38, 16, v16
	v_cndmask_b32_e32 v20, v22, v20, vcc_lo
	v_lshlrev_b16 v36, 8, v37
	v_lshrrev_b32_e32 v37, 24, v18
	v_cndmask_b32_e64 v29, 15, v29, s4
	v_cmp_ne_u32_e64 s4, 15, v23
	v_and_b32_e32 v22, 0x10000, v10
	v_lshlrev_b16 v29, 8, v29
	v_cndmask_b32_e64 v37, 15, v37, s4
	v_cmp_ne_u32_e64 s4, 12, v23
	v_lshlrev_b16 v37, 8, v37
	v_cndmask_b32_e64 v39, 15, v18, s4
	v_cmp_ne_u32_e64 s4, 14, v23
	v_or_b32_sdwa v29, v39, v29 dst_sel:DWORD dst_unused:UNUSED_PAD src0_sel:BYTE_0 src1_sel:DWORD
	v_cndmask_b32_e64 v40, 15, v40, s4
	v_cmp_ne_u32_e64 s4, 17, v23
	v_or_b32_sdwa v37, v40, v37 dst_sel:WORD_1 dst_unused:UNUSED_PAD src0_sel:BYTE_0 src1_sel:DWORD
	v_cndmask_b32_e64 v41, 15, v41, s4
	v_cmp_ne_u32_e64 s4, 19, v23
	v_or_b32_sdwa v27, v29, v37 dst_sel:DWORD dst_unused:UNUSED_PAD src0_sel:WORD_0 src1_sel:DWORD
	v_lshlrev_b16 v41, 8, v41
	v_cndmask_b32_e64 v42, 15, v42, s4
	v_cmp_ne_u32_e64 s4, 16, v23
	v_bfe_u32 v29, v10, 15, 1
	v_cndmask_b32_e32 v18, v27, v18, vcc_lo
	v_lshrrev_b32_e32 v27, 24, v17
	v_lshlrev_b16 v42, 8, v42
	v_cndmask_b32_e64 v44, 15, v21, s4
	v_cmp_ne_u32_e64 s4, 18, v23
	v_lshrrev_b32_e32 v37, 16, v19
	v_lshrrev_b32_e32 v40, 16, v18
	v_or_b32_sdwa v39, v44, v41 dst_sel:DWORD dst_unused:UNUSED_PAD src0_sel:BYTE_0 src1_sel:DWORD
	v_cndmask_b32_e64 v43, 15, v43, s4
	v_cmp_ne_u32_e64 s4, 10, v23
	v_add_nc_u32_e32 v23, v23, v29
	v_lshrrev_b32_e32 v29, 16, v17
	v_or_b32_sdwa v41, v43, v42 dst_sel:WORD_1 dst_unused:UNUSED_PAD src0_sel:BYTE_0 src1_sel:DWORD
	v_cndmask_b32_e64 v38, 15, v38, s4
	v_cmp_ne_u32_e64 s4, 5, v23
	v_or_b32_sdwa v25, v39, v41 dst_sel:DWORD dst_unused:UNUSED_PAD src0_sel:WORD_0 src1_sel:DWORD
	v_or_b32_sdwa v36, v38, v36 dst_sel:WORD_1 dst_unused:UNUSED_PAD src0_sel:BYTE_0 src1_sel:DWORD
	v_cndmask_b32_e32 v21, v25, v21, vcc_lo
	v_or_b32_sdwa v28, v28, v36 dst_sel:DWORD dst_unused:UNUSED_PAD src0_sel:WORD_0 src1_sel:DWORD
	v_lshrrev_b32_e32 v41, 8, v21
	v_cndmask_b32_e32 v16, v28, v16, vcc_lo
	v_cmp_ne_u32_e32 vcc_lo, 0, v23
	v_lshrrev_b32_e32 v28, 24, v19
	v_lshrrev_b32_e32 v42, 24, v21
	v_lshrrev_b32_e32 v43, 16, v21
	v_cndmask_b32_e32 v25, 16, v19, vcc_lo
	v_cmp_ne_u32_e32 vcc_lo, 1, v23
	v_cndmask_b32_e32 v24, 16, v24, vcc_lo
	v_cmp_ne_u32_e32 vcc_lo, 21, v23
	v_lshlrev_b16 v24, 8, v24
	v_cndmask_b32_e32 v26, 16, v26, vcc_lo
	v_cmp_ne_u32_e32 vcc_lo, 23, v23
	v_or_b32_sdwa v24, v25, v24 dst_sel:DWORD dst_unused:UNUSED_PAD src0_sel:BYTE_0 src1_sel:DWORD
	v_lshlrev_b16 v26, 8, v26
	v_cndmask_b32_e32 v27, 16, v27, vcc_lo
	v_cmp_ne_u32_e32 vcc_lo, 20, v23
	v_lshrrev_b32_e32 v25, 24, v20
	v_lshlrev_b16 v27, 8, v27
	v_cndmask_b32_e32 v36, 16, v17, vcc_lo
	v_cmp_ne_u32_e32 vcc_lo, 22, v23
	v_or_b32_sdwa v26, v36, v26 dst_sel:DWORD dst_unused:UNUSED_PAD src0_sel:BYTE_0 src1_sel:DWORD
	v_cndmask_b32_e32 v29, 16, v29, vcc_lo
	v_cmp_ne_u32_e32 vcc_lo, 3, v23
	v_lshrrev_b32_e32 v36, 16, v20
	v_or_b32_sdwa v27, v29, v27 dst_sel:WORD_1 dst_unused:UNUSED_PAD src0_sel:BYTE_0 src1_sel:DWORD
	v_cndmask_b32_e32 v28, 16, v28, vcc_lo
	v_cmp_ne_u32_e32 vcc_lo, 2, v23
	v_or_b32_sdwa v26, v26, v27 dst_sel:DWORD dst_unused:UNUSED_PAD src0_sel:WORD_0 src1_sel:DWORD
	v_lshlrev_b16 v28, 8, v28
	v_cndmask_b32_e32 v29, 16, v37, vcc_lo
	v_cmp_eq_u32_e32 vcc_lo, 0, v22
	v_lshrrev_b32_e32 v22, 8, v20
	v_lshrrev_b32_e32 v37, 24, v16
	v_or_b32_sdwa v27, v29, v28 dst_sel:WORD_1 dst_unused:UNUSED_PAD src0_sel:BYTE_0 src1_sel:DWORD
	v_lshrrev_b32_e32 v29, 8, v16
	v_cndmask_b32_e64 v22, 16, v22, s4
	v_cmp_ne_u32_e64 s4, 7, v23
	v_cndmask_b32_e32 v17, v26, v17, vcc_lo
	v_or_b32_sdwa v24, v24, v27 dst_sel:DWORD dst_unused:UNUSED_PAD src0_sel:WORD_0 src1_sel:DWORD
	v_lshlrev_b16 v22, 8, v22
	v_cndmask_b32_e64 v25, 16, v25, s4
	v_cmp_ne_u32_e64 s4, 4, v23
	v_cndmask_b32_e32 v19, v24, v19, vcc_lo
	v_lshrrev_b32_e32 v26, 8, v17
	v_lshlrev_b16 v25, 8, v25
	v_cndmask_b32_e64 v28, 16, v20, s4
	v_cmp_ne_u32_e64 s4, 9, v23
	v_lshrrev_b32_e32 v24, 8, v19
	v_or_b32_sdwa v22, v28, v22 dst_sel:DWORD dst_unused:UNUSED_PAD src0_sel:BYTE_0 src1_sel:DWORD
	v_cndmask_b32_e64 v29, 16, v29, s4
	v_cmp_ne_u32_e64 s4, 6, v23
	v_lshlrev_b16 v29, 8, v29
	v_cndmask_b32_e64 v36, 16, v36, s4
	v_cmp_ne_u32_e64 s4, 8, v23
	v_or_b32_sdwa v25, v36, v25 dst_sel:WORD_1 dst_unused:UNUSED_PAD src0_sel:BYTE_0 src1_sel:DWORD
	v_cndmask_b32_e64 v38, 16, v16, s4
	v_cmp_ne_u32_e64 s4, 11, v23
	v_or_b32_sdwa v22, v22, v25 dst_sel:DWORD dst_unused:UNUSED_PAD src0_sel:WORD_0 src1_sel:DWORD
	v_or_b32_sdwa v28, v38, v29 dst_sel:DWORD dst_unused:UNUSED_PAD src0_sel:BYTE_0 src1_sel:DWORD
	v_cndmask_b32_e64 v37, 16, v37, s4
	v_lshrrev_b32_e32 v29, 8, v18
	v_cmp_ne_u32_e64 s4, 13, v23
	v_lshrrev_b32_e32 v38, 16, v16
	v_cndmask_b32_e32 v20, v22, v20, vcc_lo
	v_lshlrev_b16 v36, 8, v37
	v_lshrrev_b32_e32 v37, 24, v18
	v_cndmask_b32_e64 v29, 16, v29, s4
	v_cmp_ne_u32_e64 s4, 15, v23
	v_and_b32_e32 v22, 0x20000, v10
	v_lshlrev_b16 v29, 8, v29
	v_cndmask_b32_e64 v37, 16, v37, s4
	v_cmp_ne_u32_e64 s4, 12, v23
	v_lshlrev_b16 v37, 8, v37
	v_cndmask_b32_e64 v39, 16, v18, s4
	v_cmp_ne_u32_e64 s4, 14, v23
	v_or_b32_sdwa v29, v39, v29 dst_sel:DWORD dst_unused:UNUSED_PAD src0_sel:BYTE_0 src1_sel:DWORD
	v_cndmask_b32_e64 v40, 16, v40, s4
	v_cmp_ne_u32_e64 s4, 17, v23
	v_or_b32_sdwa v37, v40, v37 dst_sel:WORD_1 dst_unused:UNUSED_PAD src0_sel:BYTE_0 src1_sel:DWORD
	v_cndmask_b32_e64 v41, 16, v41, s4
	v_cmp_ne_u32_e64 s4, 19, v23
	v_or_b32_sdwa v27, v29, v37 dst_sel:DWORD dst_unused:UNUSED_PAD src0_sel:WORD_0 src1_sel:DWORD
	v_lshlrev_b16 v41, 8, v41
	v_cndmask_b32_e64 v42, 16, v42, s4
	v_cmp_ne_u32_e64 s4, 16, v23
	v_bfe_u32 v29, v10, 16, 1
	v_cndmask_b32_e32 v18, v27, v18, vcc_lo
	v_lshrrev_b32_e32 v27, 24, v17
	v_lshlrev_b16 v42, 8, v42
	v_cndmask_b32_e64 v44, 16, v21, s4
	v_cmp_ne_u32_e64 s4, 18, v23
	v_lshrrev_b32_e32 v37, 16, v19
	v_lshrrev_b32_e32 v40, 16, v18
	v_or_b32_sdwa v39, v44, v41 dst_sel:DWORD dst_unused:UNUSED_PAD src0_sel:BYTE_0 src1_sel:DWORD
	v_cndmask_b32_e64 v43, 16, v43, s4
	v_cmp_ne_u32_e64 s4, 10, v23
	v_add_nc_u32_e32 v23, v23, v29
	v_lshrrev_b32_e32 v29, 16, v17
	v_or_b32_sdwa v41, v43, v42 dst_sel:WORD_1 dst_unused:UNUSED_PAD src0_sel:BYTE_0 src1_sel:DWORD
	v_cndmask_b32_e64 v38, 16, v38, s4
	v_cmp_ne_u32_e64 s4, 5, v23
	v_or_b32_sdwa v25, v39, v41 dst_sel:DWORD dst_unused:UNUSED_PAD src0_sel:WORD_0 src1_sel:DWORD
	v_or_b32_sdwa v36, v38, v36 dst_sel:WORD_1 dst_unused:UNUSED_PAD src0_sel:BYTE_0 src1_sel:DWORD
	v_cndmask_b32_e32 v21, v25, v21, vcc_lo
	v_or_b32_sdwa v28, v28, v36 dst_sel:DWORD dst_unused:UNUSED_PAD src0_sel:WORD_0 src1_sel:DWORD
	v_lshrrev_b32_e32 v41, 8, v21
	v_cndmask_b32_e32 v16, v28, v16, vcc_lo
	v_cmp_ne_u32_e32 vcc_lo, 0, v23
	v_lshrrev_b32_e32 v28, 24, v19
	v_lshrrev_b32_e32 v42, 24, v21
	;; [unrolled: 1-line block ×3, first 2 shown]
	v_cndmask_b32_e32 v25, 17, v19, vcc_lo
	v_cmp_ne_u32_e32 vcc_lo, 1, v23
	v_cndmask_b32_e32 v24, 17, v24, vcc_lo
	v_cmp_ne_u32_e32 vcc_lo, 21, v23
	v_lshlrev_b16 v24, 8, v24
	v_cndmask_b32_e32 v26, 17, v26, vcc_lo
	v_cmp_ne_u32_e32 vcc_lo, 23, v23
	v_or_b32_sdwa v24, v25, v24 dst_sel:DWORD dst_unused:UNUSED_PAD src0_sel:BYTE_0 src1_sel:DWORD
	v_lshlrev_b16 v26, 8, v26
	v_cndmask_b32_e32 v27, 17, v27, vcc_lo
	v_cmp_ne_u32_e32 vcc_lo, 20, v23
	v_lshrrev_b32_e32 v25, 24, v20
	v_lshlrev_b16 v27, 8, v27
	v_cndmask_b32_e32 v36, 17, v17, vcc_lo
	v_cmp_ne_u32_e32 vcc_lo, 22, v23
	v_or_b32_sdwa v26, v36, v26 dst_sel:DWORD dst_unused:UNUSED_PAD src0_sel:BYTE_0 src1_sel:DWORD
	v_cndmask_b32_e32 v29, 17, v29, vcc_lo
	v_cmp_ne_u32_e32 vcc_lo, 3, v23
	v_lshrrev_b32_e32 v36, 16, v20
	v_or_b32_sdwa v27, v29, v27 dst_sel:WORD_1 dst_unused:UNUSED_PAD src0_sel:BYTE_0 src1_sel:DWORD
	v_cndmask_b32_e32 v28, 17, v28, vcc_lo
	v_cmp_ne_u32_e32 vcc_lo, 2, v23
	v_or_b32_sdwa v26, v26, v27 dst_sel:DWORD dst_unused:UNUSED_PAD src0_sel:WORD_0 src1_sel:DWORD
	v_lshlrev_b16 v28, 8, v28
	v_cndmask_b32_e32 v29, 17, v37, vcc_lo
	v_cmp_eq_u32_e32 vcc_lo, 0, v22
	v_lshrrev_b32_e32 v22, 8, v20
	v_lshrrev_b32_e32 v37, 24, v16
	v_or_b32_sdwa v27, v29, v28 dst_sel:WORD_1 dst_unused:UNUSED_PAD src0_sel:BYTE_0 src1_sel:DWORD
	v_lshrrev_b32_e32 v29, 8, v16
	v_cndmask_b32_e64 v22, 17, v22, s4
	v_cmp_ne_u32_e64 s4, 7, v23
	v_cndmask_b32_e32 v17, v26, v17, vcc_lo
	v_or_b32_sdwa v24, v24, v27 dst_sel:DWORD dst_unused:UNUSED_PAD src0_sel:WORD_0 src1_sel:DWORD
	v_lshlrev_b16 v22, 8, v22
	v_cndmask_b32_e64 v25, 17, v25, s4
	v_cmp_ne_u32_e64 s4, 4, v23
	v_cndmask_b32_e32 v19, v24, v19, vcc_lo
	v_lshrrev_b32_e32 v26, 8, v17
	v_lshlrev_b16 v25, 8, v25
	v_cndmask_b32_e64 v28, 17, v20, s4
	v_cmp_ne_u32_e64 s4, 9, v23
	v_lshrrev_b32_e32 v24, 8, v19
	v_or_b32_sdwa v22, v28, v22 dst_sel:DWORD dst_unused:UNUSED_PAD src0_sel:BYTE_0 src1_sel:DWORD
	v_cndmask_b32_e64 v29, 17, v29, s4
	v_cmp_ne_u32_e64 s4, 6, v23
	v_lshlrev_b16 v29, 8, v29
	v_cndmask_b32_e64 v36, 17, v36, s4
	v_cmp_ne_u32_e64 s4, 8, v23
	v_or_b32_sdwa v25, v36, v25 dst_sel:WORD_1 dst_unused:UNUSED_PAD src0_sel:BYTE_0 src1_sel:DWORD
	v_cndmask_b32_e64 v38, 17, v16, s4
	v_cmp_ne_u32_e64 s4, 11, v23
	v_or_b32_sdwa v22, v22, v25 dst_sel:DWORD dst_unused:UNUSED_PAD src0_sel:WORD_0 src1_sel:DWORD
	v_or_b32_sdwa v28, v38, v29 dst_sel:DWORD dst_unused:UNUSED_PAD src0_sel:BYTE_0 src1_sel:DWORD
	v_cndmask_b32_e64 v37, 17, v37, s4
	v_lshrrev_b32_e32 v29, 8, v18
	v_cmp_ne_u32_e64 s4, 13, v23
	v_lshrrev_b32_e32 v38, 16, v16
	v_cndmask_b32_e32 v20, v22, v20, vcc_lo
	v_lshlrev_b16 v36, 8, v37
	v_lshrrev_b32_e32 v37, 24, v18
	v_cndmask_b32_e64 v29, 17, v29, s4
	v_cmp_ne_u32_e64 s4, 15, v23
	v_and_b32_e32 v22, 0x40000, v10
	v_lshlrev_b16 v29, 8, v29
	v_cndmask_b32_e64 v37, 17, v37, s4
	v_cmp_ne_u32_e64 s4, 12, v23
	v_lshlrev_b16 v37, 8, v37
	v_cndmask_b32_e64 v39, 17, v18, s4
	v_cmp_ne_u32_e64 s4, 14, v23
	v_or_b32_sdwa v29, v39, v29 dst_sel:DWORD dst_unused:UNUSED_PAD src0_sel:BYTE_0 src1_sel:DWORD
	v_cndmask_b32_e64 v40, 17, v40, s4
	v_cmp_ne_u32_e64 s4, 17, v23
	v_or_b32_sdwa v37, v40, v37 dst_sel:WORD_1 dst_unused:UNUSED_PAD src0_sel:BYTE_0 src1_sel:DWORD
	v_cndmask_b32_e64 v41, 17, v41, s4
	v_cmp_ne_u32_e64 s4, 19, v23
	v_or_b32_sdwa v27, v29, v37 dst_sel:DWORD dst_unused:UNUSED_PAD src0_sel:WORD_0 src1_sel:DWORD
	v_lshlrev_b16 v41, 8, v41
	v_cndmask_b32_e64 v42, 17, v42, s4
	v_cmp_ne_u32_e64 s4, 16, v23
	v_bfe_u32 v29, v10, 17, 1
	v_cndmask_b32_e32 v18, v27, v18, vcc_lo
	v_lshrrev_b32_e32 v27, 24, v17
	v_lshlrev_b16 v42, 8, v42
	v_cndmask_b32_e64 v44, 17, v21, s4
	v_cmp_ne_u32_e64 s4, 18, v23
	v_lshrrev_b32_e32 v37, 16, v19
	v_lshrrev_b32_e32 v40, 16, v18
	v_or_b32_sdwa v39, v44, v41 dst_sel:DWORD dst_unused:UNUSED_PAD src0_sel:BYTE_0 src1_sel:DWORD
	v_cndmask_b32_e64 v43, 17, v43, s4
	v_cmp_ne_u32_e64 s4, 10, v23
	v_add_nc_u32_e32 v23, v23, v29
	v_lshrrev_b32_e32 v29, 16, v17
	v_or_b32_sdwa v41, v43, v42 dst_sel:WORD_1 dst_unused:UNUSED_PAD src0_sel:BYTE_0 src1_sel:DWORD
	v_cndmask_b32_e64 v38, 17, v38, s4
	v_cmp_ne_u32_e64 s4, 5, v23
	v_or_b32_sdwa v25, v39, v41 dst_sel:DWORD dst_unused:UNUSED_PAD src0_sel:WORD_0 src1_sel:DWORD
	v_or_b32_sdwa v36, v38, v36 dst_sel:WORD_1 dst_unused:UNUSED_PAD src0_sel:BYTE_0 src1_sel:DWORD
	v_cndmask_b32_e32 v21, v25, v21, vcc_lo
	v_or_b32_sdwa v28, v28, v36 dst_sel:DWORD dst_unused:UNUSED_PAD src0_sel:WORD_0 src1_sel:DWORD
	v_lshrrev_b32_e32 v41, 8, v21
	v_cndmask_b32_e32 v16, v28, v16, vcc_lo
	v_cmp_ne_u32_e32 vcc_lo, 0, v23
	v_lshrrev_b32_e32 v28, 24, v19
	v_lshrrev_b32_e32 v42, 24, v21
	;; [unrolled: 1-line block ×3, first 2 shown]
	v_cndmask_b32_e32 v25, 18, v19, vcc_lo
	v_cmp_ne_u32_e32 vcc_lo, 1, v23
	v_cndmask_b32_e32 v24, 18, v24, vcc_lo
	v_cmp_ne_u32_e32 vcc_lo, 21, v23
	v_lshlrev_b16 v24, 8, v24
	v_cndmask_b32_e32 v26, 18, v26, vcc_lo
	v_cmp_ne_u32_e32 vcc_lo, 23, v23
	v_or_b32_sdwa v24, v25, v24 dst_sel:DWORD dst_unused:UNUSED_PAD src0_sel:BYTE_0 src1_sel:DWORD
	v_lshlrev_b16 v26, 8, v26
	v_cndmask_b32_e32 v27, 18, v27, vcc_lo
	v_cmp_ne_u32_e32 vcc_lo, 20, v23
	v_lshrrev_b32_e32 v25, 24, v20
	v_lshlrev_b16 v27, 8, v27
	v_cndmask_b32_e32 v36, 18, v17, vcc_lo
	v_cmp_ne_u32_e32 vcc_lo, 22, v23
	v_or_b32_sdwa v26, v36, v26 dst_sel:DWORD dst_unused:UNUSED_PAD src0_sel:BYTE_0 src1_sel:DWORD
	v_cndmask_b32_e32 v29, 18, v29, vcc_lo
	v_cmp_ne_u32_e32 vcc_lo, 3, v23
	v_lshrrev_b32_e32 v36, 16, v20
	v_or_b32_sdwa v27, v29, v27 dst_sel:WORD_1 dst_unused:UNUSED_PAD src0_sel:BYTE_0 src1_sel:DWORD
	v_cndmask_b32_e32 v28, 18, v28, vcc_lo
	v_cmp_ne_u32_e32 vcc_lo, 2, v23
	v_or_b32_sdwa v26, v26, v27 dst_sel:DWORD dst_unused:UNUSED_PAD src0_sel:WORD_0 src1_sel:DWORD
	v_lshlrev_b16 v28, 8, v28
	v_cndmask_b32_e32 v29, 18, v37, vcc_lo
	v_cmp_eq_u32_e32 vcc_lo, 0, v22
	v_lshrrev_b32_e32 v22, 8, v20
	v_lshrrev_b32_e32 v37, 24, v16
	v_or_b32_sdwa v27, v29, v28 dst_sel:WORD_1 dst_unused:UNUSED_PAD src0_sel:BYTE_0 src1_sel:DWORD
	v_lshrrev_b32_e32 v29, 8, v16
	v_cndmask_b32_e64 v22, 18, v22, s4
	v_cmp_ne_u32_e64 s4, 7, v23
	v_cndmask_b32_e32 v17, v26, v17, vcc_lo
	v_or_b32_sdwa v24, v24, v27 dst_sel:DWORD dst_unused:UNUSED_PAD src0_sel:WORD_0 src1_sel:DWORD
	v_lshlrev_b16 v22, 8, v22
	v_cndmask_b32_e64 v25, 18, v25, s4
	v_cmp_ne_u32_e64 s4, 4, v23
	v_cndmask_b32_e32 v19, v24, v19, vcc_lo
	v_lshrrev_b32_e32 v26, 8, v17
	v_lshlrev_b16 v25, 8, v25
	v_cndmask_b32_e64 v28, 18, v20, s4
	v_cmp_ne_u32_e64 s4, 9, v23
	v_lshrrev_b32_e32 v24, 8, v19
	v_or_b32_sdwa v22, v28, v22 dst_sel:DWORD dst_unused:UNUSED_PAD src0_sel:BYTE_0 src1_sel:DWORD
	v_cndmask_b32_e64 v29, 18, v29, s4
	v_cmp_ne_u32_e64 s4, 6, v23
	v_lshlrev_b16 v29, 8, v29
	v_cndmask_b32_e64 v36, 18, v36, s4
	v_cmp_ne_u32_e64 s4, 8, v23
	v_or_b32_sdwa v25, v36, v25 dst_sel:WORD_1 dst_unused:UNUSED_PAD src0_sel:BYTE_0 src1_sel:DWORD
	v_cndmask_b32_e64 v38, 18, v16, s4
	v_cmp_ne_u32_e64 s4, 11, v23
	v_or_b32_sdwa v22, v22, v25 dst_sel:DWORD dst_unused:UNUSED_PAD src0_sel:WORD_0 src1_sel:DWORD
	v_or_b32_sdwa v28, v38, v29 dst_sel:DWORD dst_unused:UNUSED_PAD src0_sel:BYTE_0 src1_sel:DWORD
	v_cndmask_b32_e64 v37, 18, v37, s4
	v_lshrrev_b32_e32 v29, 8, v18
	v_cmp_ne_u32_e64 s4, 13, v23
	v_lshrrev_b32_e32 v38, 16, v16
	v_cndmask_b32_e32 v20, v22, v20, vcc_lo
	v_lshlrev_b16 v36, 8, v37
	v_lshrrev_b32_e32 v37, 24, v18
	v_cndmask_b32_e64 v29, 18, v29, s4
	v_cmp_ne_u32_e64 s4, 15, v23
	v_and_b32_e32 v22, 0x80000, v10
	v_lshlrev_b16 v29, 8, v29
	v_cndmask_b32_e64 v37, 18, v37, s4
	v_cmp_ne_u32_e64 s4, 12, v23
	v_lshlrev_b16 v37, 8, v37
	v_cndmask_b32_e64 v39, 18, v18, s4
	v_cmp_ne_u32_e64 s4, 14, v23
	v_or_b32_sdwa v29, v39, v29 dst_sel:DWORD dst_unused:UNUSED_PAD src0_sel:BYTE_0 src1_sel:DWORD
	v_cndmask_b32_e64 v40, 18, v40, s4
	v_cmp_ne_u32_e64 s4, 17, v23
	v_or_b32_sdwa v37, v40, v37 dst_sel:WORD_1 dst_unused:UNUSED_PAD src0_sel:BYTE_0 src1_sel:DWORD
	v_cndmask_b32_e64 v41, 18, v41, s4
	v_cmp_ne_u32_e64 s4, 19, v23
	v_or_b32_sdwa v27, v29, v37 dst_sel:DWORD dst_unused:UNUSED_PAD src0_sel:WORD_0 src1_sel:DWORD
	v_lshlrev_b16 v41, 8, v41
	v_cndmask_b32_e64 v42, 18, v42, s4
	v_cmp_ne_u32_e64 s4, 16, v23
	v_bfe_u32 v29, v10, 18, 1
	v_cndmask_b32_e32 v18, v27, v18, vcc_lo
	v_lshrrev_b32_e32 v27, 24, v17
	v_lshlrev_b16 v42, 8, v42
	v_cndmask_b32_e64 v44, 18, v21, s4
	v_cmp_ne_u32_e64 s4, 18, v23
	v_lshrrev_b32_e32 v37, 16, v19
	v_lshrrev_b32_e32 v40, 16, v18
	v_or_b32_sdwa v39, v44, v41 dst_sel:DWORD dst_unused:UNUSED_PAD src0_sel:BYTE_0 src1_sel:DWORD
	v_cndmask_b32_e64 v43, 18, v43, s4
	v_cmp_ne_u32_e64 s4, 10, v23
	v_add_nc_u32_e32 v23, v23, v29
	v_lshrrev_b32_e32 v29, 16, v17
	v_or_b32_sdwa v41, v43, v42 dst_sel:WORD_1 dst_unused:UNUSED_PAD src0_sel:BYTE_0 src1_sel:DWORD
	v_cndmask_b32_e64 v38, 18, v38, s4
	v_cmp_ne_u32_e64 s4, 5, v23
	v_or_b32_sdwa v25, v39, v41 dst_sel:DWORD dst_unused:UNUSED_PAD src0_sel:WORD_0 src1_sel:DWORD
	v_or_b32_sdwa v36, v38, v36 dst_sel:WORD_1 dst_unused:UNUSED_PAD src0_sel:BYTE_0 src1_sel:DWORD
	v_cndmask_b32_e32 v21, v25, v21, vcc_lo
	v_or_b32_sdwa v28, v28, v36 dst_sel:DWORD dst_unused:UNUSED_PAD src0_sel:WORD_0 src1_sel:DWORD
	v_lshrrev_b32_e32 v41, 8, v21
	v_cndmask_b32_e32 v16, v28, v16, vcc_lo
	v_cmp_ne_u32_e32 vcc_lo, 0, v23
	v_lshrrev_b32_e32 v28, 24, v19
	v_lshrrev_b32_e32 v42, 24, v21
	;; [unrolled: 1-line block ×3, first 2 shown]
	v_cndmask_b32_e32 v25, 19, v19, vcc_lo
	v_cmp_ne_u32_e32 vcc_lo, 1, v23
	v_cndmask_b32_e32 v24, 19, v24, vcc_lo
	v_cmp_ne_u32_e32 vcc_lo, 21, v23
	v_lshlrev_b16 v24, 8, v24
	v_cndmask_b32_e32 v26, 19, v26, vcc_lo
	v_cmp_ne_u32_e32 vcc_lo, 23, v23
	v_or_b32_sdwa v24, v25, v24 dst_sel:DWORD dst_unused:UNUSED_PAD src0_sel:BYTE_0 src1_sel:DWORD
	v_lshlrev_b16 v26, 8, v26
	v_cndmask_b32_e32 v27, 19, v27, vcc_lo
	v_cmp_ne_u32_e32 vcc_lo, 20, v23
	v_lshrrev_b32_e32 v25, 24, v20
	v_lshlrev_b16 v27, 8, v27
	v_cndmask_b32_e32 v36, 19, v17, vcc_lo
	v_cmp_ne_u32_e32 vcc_lo, 22, v23
	v_or_b32_sdwa v26, v36, v26 dst_sel:DWORD dst_unused:UNUSED_PAD src0_sel:BYTE_0 src1_sel:DWORD
	v_cndmask_b32_e32 v29, 19, v29, vcc_lo
	v_cmp_ne_u32_e32 vcc_lo, 3, v23
	v_lshrrev_b32_e32 v36, 16, v20
	v_or_b32_sdwa v27, v29, v27 dst_sel:WORD_1 dst_unused:UNUSED_PAD src0_sel:BYTE_0 src1_sel:DWORD
	v_cndmask_b32_e32 v28, 19, v28, vcc_lo
	v_cmp_ne_u32_e32 vcc_lo, 2, v23
	v_or_b32_sdwa v26, v26, v27 dst_sel:DWORD dst_unused:UNUSED_PAD src0_sel:WORD_0 src1_sel:DWORD
	v_lshlrev_b16 v28, 8, v28
	v_cndmask_b32_e32 v29, 19, v37, vcc_lo
	v_cmp_eq_u32_e32 vcc_lo, 0, v22
	v_lshrrev_b32_e32 v22, 8, v20
	v_lshrrev_b32_e32 v37, 24, v16
	v_or_b32_sdwa v27, v29, v28 dst_sel:WORD_1 dst_unused:UNUSED_PAD src0_sel:BYTE_0 src1_sel:DWORD
	v_lshrrev_b32_e32 v29, 8, v16
	v_cndmask_b32_e64 v22, 19, v22, s4
	v_cmp_ne_u32_e64 s4, 7, v23
	v_cndmask_b32_e32 v17, v26, v17, vcc_lo
	v_or_b32_sdwa v24, v24, v27 dst_sel:DWORD dst_unused:UNUSED_PAD src0_sel:WORD_0 src1_sel:DWORD
	v_lshlrev_b16 v22, 8, v22
	v_cndmask_b32_e64 v25, 19, v25, s4
	v_cmp_ne_u32_e64 s4, 4, v23
	v_cndmask_b32_e32 v19, v24, v19, vcc_lo
	v_lshrrev_b32_e32 v26, 8, v17
	v_lshlrev_b16 v25, 8, v25
	v_cndmask_b32_e64 v28, 19, v20, s4
	v_cmp_ne_u32_e64 s4, 9, v23
	v_lshrrev_b32_e32 v24, 8, v19
	v_or_b32_sdwa v22, v28, v22 dst_sel:DWORD dst_unused:UNUSED_PAD src0_sel:BYTE_0 src1_sel:DWORD
	v_cndmask_b32_e64 v29, 19, v29, s4
	v_cmp_ne_u32_e64 s4, 6, v23
	v_lshlrev_b16 v29, 8, v29
	v_cndmask_b32_e64 v36, 19, v36, s4
	v_cmp_ne_u32_e64 s4, 8, v23
	v_or_b32_sdwa v25, v36, v25 dst_sel:WORD_1 dst_unused:UNUSED_PAD src0_sel:BYTE_0 src1_sel:DWORD
	v_cndmask_b32_e64 v38, 19, v16, s4
	v_cmp_ne_u32_e64 s4, 11, v23
	v_or_b32_sdwa v22, v22, v25 dst_sel:DWORD dst_unused:UNUSED_PAD src0_sel:WORD_0 src1_sel:DWORD
	v_or_b32_sdwa v28, v38, v29 dst_sel:DWORD dst_unused:UNUSED_PAD src0_sel:BYTE_0 src1_sel:DWORD
	v_cndmask_b32_e64 v37, 19, v37, s4
	v_lshrrev_b32_e32 v29, 8, v18
	v_cmp_ne_u32_e64 s4, 13, v23
	v_lshrrev_b32_e32 v38, 16, v16
	v_cndmask_b32_e32 v20, v22, v20, vcc_lo
	v_lshlrev_b16 v36, 8, v37
	v_lshrrev_b32_e32 v37, 24, v18
	v_cndmask_b32_e64 v29, 19, v29, s4
	v_cmp_ne_u32_e64 s4, 15, v23
	v_and_b32_e32 v22, 0x100000, v10
	v_lshlrev_b16 v29, 8, v29
	v_cndmask_b32_e64 v37, 19, v37, s4
	v_cmp_ne_u32_e64 s4, 12, v23
	v_lshlrev_b16 v37, 8, v37
	v_cndmask_b32_e64 v39, 19, v18, s4
	v_cmp_ne_u32_e64 s4, 14, v23
	v_or_b32_sdwa v29, v39, v29 dst_sel:DWORD dst_unused:UNUSED_PAD src0_sel:BYTE_0 src1_sel:DWORD
	v_cndmask_b32_e64 v40, 19, v40, s4
	v_cmp_ne_u32_e64 s4, 17, v23
	v_or_b32_sdwa v37, v40, v37 dst_sel:WORD_1 dst_unused:UNUSED_PAD src0_sel:BYTE_0 src1_sel:DWORD
	v_cndmask_b32_e64 v41, 19, v41, s4
	v_cmp_ne_u32_e64 s4, 19, v23
	v_or_b32_sdwa v27, v29, v37 dst_sel:DWORD dst_unused:UNUSED_PAD src0_sel:WORD_0 src1_sel:DWORD
	v_lshlrev_b16 v41, 8, v41
	v_cndmask_b32_e64 v42, 19, v42, s4
	v_cmp_ne_u32_e64 s4, 16, v23
	v_bfe_u32 v29, v10, 19, 1
	v_cndmask_b32_e32 v18, v27, v18, vcc_lo
	v_lshrrev_b32_e32 v27, 24, v17
	v_lshlrev_b16 v42, 8, v42
	v_cndmask_b32_e64 v44, 19, v21, s4
	v_cmp_ne_u32_e64 s4, 18, v23
	v_lshrrev_b32_e32 v37, 16, v19
	v_lshrrev_b32_e32 v40, 16, v18
	v_or_b32_sdwa v39, v44, v41 dst_sel:DWORD dst_unused:UNUSED_PAD src0_sel:BYTE_0 src1_sel:DWORD
	v_cndmask_b32_e64 v43, 19, v43, s4
	v_cmp_ne_u32_e64 s4, 10, v23
	v_add_nc_u32_e32 v23, v23, v29
	v_lshrrev_b32_e32 v29, 16, v17
	v_or_b32_sdwa v41, v43, v42 dst_sel:WORD_1 dst_unused:UNUSED_PAD src0_sel:BYTE_0 src1_sel:DWORD
	v_cndmask_b32_e64 v38, 19, v38, s4
	v_cmp_ne_u32_e64 s4, 5, v23
	v_or_b32_sdwa v25, v39, v41 dst_sel:DWORD dst_unused:UNUSED_PAD src0_sel:WORD_0 src1_sel:DWORD
	v_or_b32_sdwa v36, v38, v36 dst_sel:WORD_1 dst_unused:UNUSED_PAD src0_sel:BYTE_0 src1_sel:DWORD
	v_cndmask_b32_e32 v21, v25, v21, vcc_lo
	v_or_b32_sdwa v28, v28, v36 dst_sel:DWORD dst_unused:UNUSED_PAD src0_sel:WORD_0 src1_sel:DWORD
	v_lshrrev_b32_e32 v41, 8, v21
	v_cndmask_b32_e32 v16, v28, v16, vcc_lo
	v_cmp_ne_u32_e32 vcc_lo, 0, v23
	v_lshrrev_b32_e32 v28, 24, v19
	v_lshrrev_b32_e32 v42, 24, v21
	;; [unrolled: 1-line block ×3, first 2 shown]
	v_cndmask_b32_e32 v25, 20, v19, vcc_lo
	v_cmp_ne_u32_e32 vcc_lo, 1, v23
	v_cndmask_b32_e32 v24, 20, v24, vcc_lo
	v_cmp_ne_u32_e32 vcc_lo, 21, v23
	v_lshlrev_b16 v24, 8, v24
	v_cndmask_b32_e32 v26, 20, v26, vcc_lo
	v_cmp_ne_u32_e32 vcc_lo, 23, v23
	v_or_b32_sdwa v24, v25, v24 dst_sel:DWORD dst_unused:UNUSED_PAD src0_sel:BYTE_0 src1_sel:DWORD
	v_lshlrev_b16 v26, 8, v26
	v_cndmask_b32_e32 v27, 20, v27, vcc_lo
	v_cmp_ne_u32_e32 vcc_lo, 20, v23
	v_lshrrev_b32_e32 v25, 24, v20
	v_lshlrev_b16 v27, 8, v27
	v_cndmask_b32_e32 v36, 20, v17, vcc_lo
	v_cmp_ne_u32_e32 vcc_lo, 22, v23
	v_or_b32_sdwa v26, v36, v26 dst_sel:DWORD dst_unused:UNUSED_PAD src0_sel:BYTE_0 src1_sel:DWORD
	v_cndmask_b32_e32 v29, 20, v29, vcc_lo
	v_cmp_ne_u32_e32 vcc_lo, 3, v23
	v_lshrrev_b32_e32 v36, 16, v20
	v_or_b32_sdwa v27, v29, v27 dst_sel:WORD_1 dst_unused:UNUSED_PAD src0_sel:BYTE_0 src1_sel:DWORD
	v_cndmask_b32_e32 v28, 20, v28, vcc_lo
	v_cmp_ne_u32_e32 vcc_lo, 2, v23
	v_or_b32_sdwa v26, v26, v27 dst_sel:DWORD dst_unused:UNUSED_PAD src0_sel:WORD_0 src1_sel:DWORD
	v_lshlrev_b16 v28, 8, v28
	v_cndmask_b32_e32 v29, 20, v37, vcc_lo
	v_cmp_eq_u32_e32 vcc_lo, 0, v22
	v_lshrrev_b32_e32 v22, 8, v20
	v_lshrrev_b32_e32 v37, 24, v16
	v_or_b32_sdwa v27, v29, v28 dst_sel:WORD_1 dst_unused:UNUSED_PAD src0_sel:BYTE_0 src1_sel:DWORD
	v_lshrrev_b32_e32 v29, 8, v16
	v_cndmask_b32_e64 v22, 20, v22, s4
	v_cmp_ne_u32_e64 s4, 7, v23
	v_cndmask_b32_e32 v17, v26, v17, vcc_lo
	v_or_b32_sdwa v24, v24, v27 dst_sel:DWORD dst_unused:UNUSED_PAD src0_sel:WORD_0 src1_sel:DWORD
	v_lshlrev_b16 v22, 8, v22
	v_cndmask_b32_e64 v25, 20, v25, s4
	v_cmp_ne_u32_e64 s4, 4, v23
	v_cndmask_b32_e32 v19, v24, v19, vcc_lo
	v_lshrrev_b32_e32 v26, 8, v17
	v_lshlrev_b16 v25, 8, v25
	v_cndmask_b32_e64 v28, 20, v20, s4
	v_cmp_ne_u32_e64 s4, 9, v23
	v_lshrrev_b32_e32 v24, 8, v19
	v_or_b32_sdwa v22, v28, v22 dst_sel:DWORD dst_unused:UNUSED_PAD src0_sel:BYTE_0 src1_sel:DWORD
	v_cndmask_b32_e64 v29, 20, v29, s4
	v_cmp_ne_u32_e64 s4, 6, v23
	v_lshlrev_b16 v29, 8, v29
	v_cndmask_b32_e64 v36, 20, v36, s4
	v_cmp_ne_u32_e64 s4, 8, v23
	v_or_b32_sdwa v25, v36, v25 dst_sel:WORD_1 dst_unused:UNUSED_PAD src0_sel:BYTE_0 src1_sel:DWORD
	v_cndmask_b32_e64 v38, 20, v16, s4
	v_cmp_ne_u32_e64 s4, 11, v23
	v_or_b32_sdwa v22, v22, v25 dst_sel:DWORD dst_unused:UNUSED_PAD src0_sel:WORD_0 src1_sel:DWORD
	v_or_b32_sdwa v28, v38, v29 dst_sel:DWORD dst_unused:UNUSED_PAD src0_sel:BYTE_0 src1_sel:DWORD
	v_cndmask_b32_e64 v37, 20, v37, s4
	v_lshrrev_b32_e32 v29, 8, v18
	v_cmp_ne_u32_e64 s4, 13, v23
	v_lshrrev_b32_e32 v38, 16, v16
	v_cndmask_b32_e32 v20, v22, v20, vcc_lo
	v_lshlrev_b16 v36, 8, v37
	v_lshrrev_b32_e32 v37, 24, v18
	v_cndmask_b32_e64 v29, 20, v29, s4
	v_cmp_ne_u32_e64 s4, 15, v23
	v_and_b32_e32 v22, 0x200000, v10
	v_lshlrev_b16 v29, 8, v29
	v_cndmask_b32_e64 v37, 20, v37, s4
	v_cmp_ne_u32_e64 s4, 12, v23
	v_lshlrev_b16 v37, 8, v37
	v_cndmask_b32_e64 v39, 20, v18, s4
	v_cmp_ne_u32_e64 s4, 14, v23
	v_or_b32_sdwa v29, v39, v29 dst_sel:DWORD dst_unused:UNUSED_PAD src0_sel:BYTE_0 src1_sel:DWORD
	v_cndmask_b32_e64 v40, 20, v40, s4
	v_cmp_ne_u32_e64 s4, 17, v23
	v_or_b32_sdwa v37, v40, v37 dst_sel:WORD_1 dst_unused:UNUSED_PAD src0_sel:BYTE_0 src1_sel:DWORD
	v_cndmask_b32_e64 v41, 20, v41, s4
	v_cmp_ne_u32_e64 s4, 19, v23
	v_or_b32_sdwa v27, v29, v37 dst_sel:DWORD dst_unused:UNUSED_PAD src0_sel:WORD_0 src1_sel:DWORD
	v_lshlrev_b16 v41, 8, v41
	v_cndmask_b32_e64 v42, 20, v42, s4
	v_cmp_ne_u32_e64 s4, 16, v23
	v_bfe_u32 v29, v10, 20, 1
	v_cndmask_b32_e32 v18, v27, v18, vcc_lo
	v_lshrrev_b32_e32 v27, 24, v17
	v_lshlrev_b16 v42, 8, v42
	v_cndmask_b32_e64 v44, 20, v21, s4
	v_cmp_ne_u32_e64 s4, 18, v23
	v_lshrrev_b32_e32 v37, 16, v19
	v_lshrrev_b32_e32 v40, 16, v18
	v_or_b32_sdwa v39, v44, v41 dst_sel:DWORD dst_unused:UNUSED_PAD src0_sel:BYTE_0 src1_sel:DWORD
	v_cndmask_b32_e64 v43, 20, v43, s4
	v_cmp_ne_u32_e64 s4, 10, v23
	v_add_nc_u32_e32 v23, v23, v29
	v_lshrrev_b32_e32 v29, 16, v17
	v_or_b32_sdwa v41, v43, v42 dst_sel:WORD_1 dst_unused:UNUSED_PAD src0_sel:BYTE_0 src1_sel:DWORD
	v_cndmask_b32_e64 v38, 20, v38, s4
	v_cmp_ne_u32_e64 s4, 5, v23
	v_or_b32_sdwa v25, v39, v41 dst_sel:DWORD dst_unused:UNUSED_PAD src0_sel:WORD_0 src1_sel:DWORD
	v_or_b32_sdwa v36, v38, v36 dst_sel:WORD_1 dst_unused:UNUSED_PAD src0_sel:BYTE_0 src1_sel:DWORD
	v_cndmask_b32_e32 v21, v25, v21, vcc_lo
	v_or_b32_sdwa v28, v28, v36 dst_sel:DWORD dst_unused:UNUSED_PAD src0_sel:WORD_0 src1_sel:DWORD
	v_lshrrev_b32_e32 v41, 8, v21
	v_cndmask_b32_e32 v16, v28, v16, vcc_lo
	v_cmp_ne_u32_e32 vcc_lo, 0, v23
	v_lshrrev_b32_e32 v28, 24, v19
	v_lshrrev_b32_e32 v42, 24, v21
	;; [unrolled: 1-line block ×4, first 2 shown]
	v_cndmask_b32_e32 v25, 21, v19, vcc_lo
	v_cmp_ne_u32_e32 vcc_lo, 1, v23
	v_cndmask_b32_e32 v24, 21, v24, vcc_lo
	v_cmp_ne_u32_e32 vcc_lo, 21, v23
	v_lshlrev_b16 v24, 8, v24
	v_cndmask_b32_e32 v26, 21, v26, vcc_lo
	v_cmp_ne_u32_e32 vcc_lo, 23, v23
	v_or_b32_sdwa v24, v25, v24 dst_sel:DWORD dst_unused:UNUSED_PAD src0_sel:BYTE_0 src1_sel:DWORD
	v_lshlrev_b16 v26, 8, v26
	v_cndmask_b32_e32 v27, 21, v27, vcc_lo
	v_cmp_ne_u32_e32 vcc_lo, 20, v23
	v_lshrrev_b32_e32 v25, 24, v20
	v_lshlrev_b16 v27, 8, v27
	v_cndmask_b32_e32 v36, 21, v17, vcc_lo
	v_cmp_ne_u32_e32 vcc_lo, 22, v23
	v_or_b32_sdwa v26, v36, v26 dst_sel:DWORD dst_unused:UNUSED_PAD src0_sel:BYTE_0 src1_sel:DWORD
	v_cndmask_b32_e32 v29, 21, v29, vcc_lo
	v_cmp_ne_u32_e32 vcc_lo, 3, v23
	v_lshrrev_b32_e32 v36, 8, v18
	v_or_b32_sdwa v27, v29, v27 dst_sel:WORD_1 dst_unused:UNUSED_PAD src0_sel:BYTE_0 src1_sel:DWORD
	v_cndmask_b32_e32 v28, 21, v28, vcc_lo
	v_cmp_ne_u32_e32 vcc_lo, 2, v23
	v_or_b32_sdwa v26, v26, v27 dst_sel:DWORD dst_unused:UNUSED_PAD src0_sel:WORD_0 src1_sel:DWORD
	v_lshlrev_b16 v28, 8, v28
	v_cndmask_b32_e32 v29, 21, v37, vcc_lo
	v_cmp_eq_u32_e32 vcc_lo, 0, v22
	v_lshrrev_b32_e32 v22, 8, v20
	v_lshrrev_b32_e32 v37, 24, v18
	v_or_b32_sdwa v27, v29, v28 dst_sel:WORD_1 dst_unused:UNUSED_PAD src0_sel:BYTE_0 src1_sel:DWORD
	v_lshrrev_b32_e32 v28, 16, v20
	v_cndmask_b32_e64 v22, 21, v22, s4
	v_cmp_ne_u32_e64 s4, 7, v23
	v_cndmask_b32_e32 v17, v26, v17, vcc_lo
	v_or_b32_sdwa v24, v24, v27 dst_sel:DWORD dst_unused:UNUSED_PAD src0_sel:WORD_0 src1_sel:DWORD
	v_lshrrev_b32_e32 v27, 8, v16
	v_lshlrev_b16 v22, 8, v22
	v_cndmask_b32_e64 v25, 21, v25, s4
	v_cmp_ne_u32_e64 s4, 4, v23
	v_bfe_u32 v26, v10, 21, 1
	v_cndmask_b32_e32 v19, v24, v19, vcc_lo
	v_lshlrev_b16 v25, 8, v25
	v_cndmask_b32_e64 v29, 21, v20, s4
	v_cmp_ne_u32_e64 s4, 6, v23
	v_or_b32_sdwa v22, v29, v22 dst_sel:DWORD dst_unused:UNUSED_PAD src0_sel:BYTE_0 src1_sel:DWORD
	v_cndmask_b32_e64 v28, 21, v28, s4
	v_cmp_ne_u32_e64 s4, 9, v23
	v_lshrrev_b32_e32 v29, 24, v16
	v_or_b32_sdwa v25, v28, v25 dst_sel:WORD_1 dst_unused:UNUSED_PAD src0_sel:BYTE_0 src1_sel:DWORD
	v_cndmask_b32_e64 v27, 21, v27, s4
	v_cmp_ne_u32_e64 s4, 11, v23
	v_or_b32_sdwa v22, v22, v25 dst_sel:DWORD dst_unused:UNUSED_PAD src0_sel:WORD_0 src1_sel:DWORD
	v_lshlrev_b16 v27, 8, v27
	v_cndmask_b32_e64 v28, 21, v29, s4
	v_cmp_ne_u32_e64 s4, 8, v23
	v_cndmask_b32_e32 v20, v22, v20, vcc_lo
	v_lshlrev_b16 v28, 8, v28
	v_cndmask_b32_e64 v29, 21, v16, s4
	v_cmp_ne_u32_e64 s4, 13, v23
	v_or_b32_sdwa v25, v29, v27 dst_sel:DWORD dst_unused:UNUSED_PAD src0_sel:BYTE_0 src1_sel:DWORD
	v_cndmask_b32_e64 v36, 21, v36, s4
	v_cmp_ne_u32_e64 s4, 15, v23
	v_lshlrev_b16 v36, 8, v36
	v_cndmask_b32_e64 v37, 21, v37, s4
	v_cmp_ne_u32_e64 s4, 12, v23
	v_lshlrev_b16 v37, 8, v37
	v_cndmask_b32_e64 v39, 21, v18, s4
	v_cmp_ne_u32_e64 s4, 14, v23
	v_or_b32_sdwa v36, v39, v36 dst_sel:DWORD dst_unused:UNUSED_PAD src0_sel:BYTE_0 src1_sel:DWORD
	v_cndmask_b32_e64 v40, 21, v40, s4
	v_cmp_ne_u32_e64 s4, 17, v23
	v_or_b32_sdwa v37, v40, v37 dst_sel:WORD_1 dst_unused:UNUSED_PAD src0_sel:BYTE_0 src1_sel:DWORD
	v_cndmask_b32_e64 v41, 21, v41, s4
	v_cmp_ne_u32_e64 s4, 19, v23
	v_lshlrev_b16 v41, 8, v41
	v_cndmask_b32_e64 v42, 21, v42, s4
	v_cmp_ne_u32_e64 s4, 16, v23
	v_lshlrev_b16 v42, 8, v42
	v_cndmask_b32_e64 v44, 21, v21, s4
	v_cmp_ne_u32_e64 s4, 18, v23
	v_or_b32_sdwa v39, v44, v41 dst_sel:DWORD dst_unused:UNUSED_PAD src0_sel:BYTE_0 src1_sel:DWORD
	v_cndmask_b32_e64 v43, 21, v43, s4
	v_cmp_ne_u32_e64 s4, 10, v23
	v_add_nc_u32_e32 v23, v23, v26
	v_lshrrev_b32_e32 v41, 24, v17
	v_or_b32_sdwa v40, v43, v42 dst_sel:WORD_1 dst_unused:UNUSED_PAD src0_sel:BYTE_0 src1_sel:DWORD
	v_cndmask_b32_e64 v38, 21, v38, s4
	v_lshrrev_b32_e32 v42, 16, v17
	v_or_b32_sdwa v29, v39, v40 dst_sel:DWORD dst_unused:UNUSED_PAD src0_sel:WORD_0 src1_sel:DWORD
	v_or_b32_sdwa v27, v38, v28 dst_sel:WORD_1 dst_unused:UNUSED_PAD src0_sel:BYTE_0 src1_sel:DWORD
	v_or_b32_sdwa v28, v36, v37 dst_sel:DWORD dst_unused:UNUSED_PAD src0_sel:WORD_0 src1_sel:DWORD
	v_lshrrev_b32_e32 v40, 8, v17
	v_cndmask_b32_e32 v21, v29, v21, vcc_lo
	v_or_b32_sdwa v24, v25, v27 dst_sel:DWORD dst_unused:UNUSED_PAD src0_sel:WORD_0 src1_sel:DWORD
	v_cndmask_b32_e32 v18, v28, v18, vcc_lo
	v_lshrrev_b32_e32 v25, 8, v19
	v_lshrrev_b32_e32 v28, 8, v20
	;; [unrolled: 1-line block ×3, first 2 shown]
	v_cndmask_b32_e32 v16, v24, v16, vcc_lo
	v_cmp_ne_u32_e32 vcc_lo, 1, v23
	v_lshrrev_b32_e32 v24, 24, v19
	v_lshrrev_b32_e32 v36, 8, v18
	;; [unrolled: 1-line block ×4, first 2 shown]
	v_cndmask_b32_e32 v22, 22, v25, vcc_lo
	v_cmp_ne_u32_e32 vcc_lo, 3, v23
	v_lshrrev_b32_e32 v25, 16, v19
	v_and_b32_e32 v27, 0x400000, v10
	v_lshlrev_b16 v22, 8, v22
	v_cndmask_b32_e32 v24, 22, v24, vcc_lo
	v_cmp_ne_u32_e32 vcc_lo, 0, v23
	v_lshlrev_b16 v24, 8, v24
	v_cndmask_b32_e32 v26, 22, v19, vcc_lo
	v_cmp_ne_u32_e32 vcc_lo, 2, v23
	v_or_b32_sdwa v22, v26, v22 dst_sel:DWORD dst_unused:UNUSED_PAD src0_sel:BYTE_0 src1_sel:DWORD
	v_cndmask_b32_e32 v25, 22, v25, vcc_lo
	v_cmp_ne_u32_e32 vcc_lo, 5, v23
	v_lshrrev_b32_e32 v26, 24, v20
	v_or_b32_sdwa v24, v25, v24 dst_sel:WORD_1 dst_unused:UNUSED_PAD src0_sel:BYTE_0 src1_sel:DWORD
	v_cndmask_b32_e32 v25, 22, v28, vcc_lo
	v_cmp_ne_u32_e32 vcc_lo, 7, v23
	v_lshrrev_b32_e32 v28, 16, v20
	v_or_b32_sdwa v22, v22, v24 dst_sel:DWORD dst_unused:UNUSED_PAD src0_sel:WORD_0 src1_sel:DWORD
	v_lshlrev_b16 v25, 8, v25
	v_cndmask_b32_e32 v26, 22, v26, vcc_lo
	v_cmp_ne_u32_e32 vcc_lo, 4, v23
	v_lshrrev_b32_e32 v24, 8, v16
	v_lshlrev_b16 v26, 8, v26
	v_cndmask_b32_e32 v29, 22, v20, vcc_lo
	v_cmp_ne_u32_e32 vcc_lo, 6, v23
	v_or_b32_sdwa v25, v29, v25 dst_sel:DWORD dst_unused:UNUSED_PAD src0_sel:BYTE_0 src1_sel:DWORD
	v_cndmask_b32_e32 v28, 22, v28, vcc_lo
	v_cmp_ne_u32_e32 vcc_lo, 9, v23
	v_lshrrev_b32_e32 v29, 24, v16
	v_or_b32_sdwa v26, v28, v26 dst_sel:WORD_1 dst_unused:UNUSED_PAD src0_sel:BYTE_0 src1_sel:DWORD
	v_cndmask_b32_e32 v24, 22, v24, vcc_lo
	v_cmp_ne_u32_e32 vcc_lo, 11, v23
	v_or_b32_sdwa v25, v25, v26 dst_sel:DWORD dst_unused:UNUSED_PAD src0_sel:WORD_0 src1_sel:DWORD
	v_lshlrev_b16 v24, 8, v24
	v_cndmask_b32_e32 v28, 22, v29, vcc_lo
	v_cmp_ne_u32_e32 vcc_lo, 8, v23
	v_lshlrev_b16 v28, 8, v28
	v_cndmask_b32_e32 v29, 22, v16, vcc_lo
	v_cmp_ne_u32_e32 vcc_lo, 13, v23
	v_or_b32_sdwa v24, v29, v24 dst_sel:DWORD dst_unused:UNUSED_PAD src0_sel:BYTE_0 src1_sel:DWORD
	v_cndmask_b32_e32 v36, 22, v36, vcc_lo
	v_cmp_ne_u32_e32 vcc_lo, 10, v23
	v_lshlrev_b16 v36, 8, v36
	v_cndmask_b32_e32 v37, 22, v37, vcc_lo
	v_cmp_ne_u32_e32 vcc_lo, 12, v23
	v_or_b32_sdwa v26, v37, v28 dst_sel:WORD_1 dst_unused:UNUSED_PAD src0_sel:BYTE_0 src1_sel:DWORD
	v_cndmask_b32_e32 v39, 22, v18, vcc_lo
	v_cmp_ne_u32_e32 vcc_lo, 15, v23
	v_lshrrev_b32_e32 v37, 8, v21
	v_or_b32_sdwa v24, v24, v26 dst_sel:DWORD dst_unused:UNUSED_PAD src0_sel:WORD_0 src1_sel:DWORD
	v_or_b32_sdwa v28, v39, v36 dst_sel:DWORD dst_unused:UNUSED_PAD src0_sel:BYTE_0 src1_sel:DWORD
	v_cndmask_b32_e32 v38, 22, v38, vcc_lo
	v_cmp_ne_u32_e32 vcc_lo, 16, v23
	v_lshrrev_b32_e32 v39, 24, v21
	v_lshrrev_b32_e32 v36, 16, v18
	v_lshlrev_b16 v29, 8, v38
	v_cndmask_b32_e32 v38, 22, v21, vcc_lo
	v_cmp_ne_u32_e32 vcc_lo, 17, v23
	v_cndmask_b32_e32 v37, 22, v37, vcc_lo
	v_cmp_ne_u32_e32 vcc_lo, 19, v23
	v_lshlrev_b16 v37, 8, v37
	v_cndmask_b32_e32 v39, 22, v39, vcc_lo
	v_cmp_ne_u32_e32 vcc_lo, 21, v23
	v_or_b32_sdwa v37, v38, v37 dst_sel:DWORD dst_unused:UNUSED_PAD src0_sel:BYTE_0 src1_sel:DWORD
	v_lshlrev_b16 v39, 8, v39
	v_cndmask_b32_e32 v40, 22, v40, vcc_lo
	v_cmp_ne_u32_e32 vcc_lo, 23, v23
	v_lshlrev_b16 v40, 8, v40
	v_cndmask_b32_e32 v41, 22, v41, vcc_lo
	v_cmp_ne_u32_e32 vcc_lo, 20, v23
	;; [unrolled: 3-line block ×3, first 2 shown]
	v_or_b32_sdwa v40, v43, v40 dst_sel:DWORD dst_unused:UNUSED_PAD src0_sel:BYTE_0 src1_sel:DWORD
	v_cndmask_b32_e32 v42, 22, v42, vcc_lo
	v_cmp_ne_u32_e32 vcc_lo, 18, v23
	v_or_b32_sdwa v41, v42, v41 dst_sel:WORD_1 dst_unused:UNUSED_PAD src0_sel:BYTE_0 src1_sel:DWORD
	v_cndmask_b32_e32 v42, 22, v44, vcc_lo
	v_cmp_ne_u32_e32 vcc_lo, 14, v23
	v_or_b32_sdwa v40, v40, v41 dst_sel:DWORD dst_unused:UNUSED_PAD src0_sel:WORD_0 src1_sel:DWORD
	v_or_b32_sdwa v38, v42, v39 dst_sel:WORD_1 dst_unused:UNUSED_PAD src0_sel:BYTE_0 src1_sel:DWORD
	v_cndmask_b32_e32 v36, 22, v36, vcc_lo
	v_bfe_u32 v39, v10, 22, 1
	v_cmp_eq_u32_e32 vcc_lo, 0, v27
	v_or_b32_sdwa v26, v37, v38 dst_sel:DWORD dst_unused:UNUSED_PAD src0_sel:WORD_0 src1_sel:DWORD
	v_or_b32_sdwa v27, v36, v29 dst_sel:WORD_1 dst_unused:UNUSED_PAD src0_sel:BYTE_0 src1_sel:DWORD
	v_add_nc_u32_e32 v23, v23, v39
	v_cndmask_b32_e32 v17, v40, v17, vcc_lo
	v_cndmask_b32_e32 v19, v22, v19, vcc_lo
	;; [unrolled: 1-line block ×3, first 2 shown]
	v_or_b32_sdwa v27, v28, v27 dst_sel:DWORD dst_unused:UNUSED_PAD src0_sel:WORD_0 src1_sel:DWORD
	v_cmp_ne_u32_e64 s4, 21, v23
	v_lshrrev_b32_e32 v29, 8, v17
	v_lshrrev_b32_e32 v28, 24, v17
	v_cndmask_b32_e32 v16, v24, v16, vcc_lo
	v_cndmask_b32_e32 v20, v25, v20, vcc_lo
	v_lshrrev_b32_e32 v25, 8, v19
	v_cndmask_b32_e64 v26, 23, v29, s4
	v_cmp_ne_u32_e64 s4, 23, v23
	v_lshrrev_b32_e32 v29, 16, v17
	v_cndmask_b32_e32 v18, v27, v18, vcc_lo
	v_lshrrev_b32_e32 v27, 24, v19
	v_lshlrev_b16 v26, 8, v26
	v_cndmask_b32_e64 v28, 23, v28, s4
	v_cmp_ne_u32_e64 s4, 20, v23
	v_lshrrev_b32_e32 v38, 24, v18
	v_lshrrev_b32_e32 v41, 16, v18
	;; [unrolled: 1-line block ×3, first 2 shown]
	v_lshlrev_b16 v28, 8, v28
	v_cndmask_b32_e64 v36, 23, v17, s4
	v_cmp_ne_u32_e64 s4, 22, v23
	v_lshrrev_b32_e32 v43, 24, v21
	v_lshrrev_b32_e32 v44, 16, v21
	;; [unrolled: 1-line block ×3, first 2 shown]
	v_or_b32_sdwa v22, v36, v26 dst_sel:DWORD dst_unused:UNUSED_PAD src0_sel:BYTE_0 src1_sel:DWORD
	v_cndmask_b32_e64 v29, 23, v29, s4
	v_cmp_ne_u32_e64 s4, 1, v23
	v_and_b32_e32 v26, 0x800000, v10
	v_bfe_u32 v10, v10, 23, 1
	v_or_b32_sdwa v24, v29, v28 dst_sel:WORD_1 dst_unused:UNUSED_PAD src0_sel:BYTE_0 src1_sel:DWORD
	v_lshrrev_b32_e32 v28, 16, v19
	v_cmp_eq_u32_e32 vcc_lo, 0, v26
	v_lshrrev_b32_e32 v29, 24, v20
	v_or_b32_sdwa v22, v22, v24 dst_sel:DWORD dst_unused:UNUSED_PAD src0_sel:WORD_0 src1_sel:DWORD
	v_cndmask_b32_e64 v24, 23, v25, s4
	v_cmp_ne_u32_e64 s4, 3, v23
	v_lshlrev_b16 v24, 8, v24
	v_cndmask_b32_e64 v25, 23, v27, s4
	v_cmp_ne_u32_e64 s4, 0, v23
	v_lshrrev_b32_e32 v27, 8, v20
	v_lshlrev_b16 v25, 8, v25
	v_cndmask_b32_e64 v26, 23, v19, s4
	v_cmp_ne_u32_e64 s4, 5, v23
	v_or_b32_sdwa v24, v26, v24 dst_sel:DWORD dst_unused:UNUSED_PAD src0_sel:BYTE_0 src1_sel:DWORD
	v_cndmask_b32_e64 v27, 23, v27, s4
	v_cmp_ne_u32_e64 s4, 2, v23
	v_lshrrev_b32_e32 v26, 8, v16
	v_lshlrev_b16 v27, 8, v27
	v_cndmask_b32_e64 v28, 23, v28, s4
	v_cmp_ne_u32_e64 s4, 4, v23
	v_or_b32_sdwa v25, v28, v25 dst_sel:WORD_1 dst_unused:UNUSED_PAD src0_sel:BYTE_0 src1_sel:DWORD
	v_cndmask_b32_e64 v36, 23, v20, s4
	v_cmp_ne_u32_e64 s4, 7, v23
	v_or_b32_sdwa v24, v24, v25 dst_sel:DWORD dst_unused:UNUSED_PAD src0_sel:WORD_0 src1_sel:DWORD
	v_or_b32_sdwa v27, v36, v27 dst_sel:DWORD dst_unused:UNUSED_PAD src0_sel:BYTE_0 src1_sel:DWORD
	v_cndmask_b32_e64 v29, 23, v29, s4
	v_cmp_ne_u32_e64 s4, 9, v23
	v_lshrrev_b32_e32 v36, 24, v16
	v_lshlrev_b16 v28, 8, v29
	v_cndmask_b32_e64 v26, 23, v26, s4
	v_cmp_ne_u32_e64 s4, 8, v23
	v_lshrrev_b32_e32 v29, 16, v20
	v_lshlrev_b16 v26, 8, v26
	v_cndmask_b32_e64 v37, 23, v16, s4
	v_cmp_ne_u32_e64 s4, 11, v23
	v_or_b32_sdwa v26, v37, v26 dst_sel:DWORD dst_unused:UNUSED_PAD src0_sel:BYTE_0 src1_sel:DWORD
	v_cndmask_b32_e64 v36, 23, v36, s4
	v_cmp_ne_u32_e64 s4, 6, v23
	v_lshrrev_b32_e32 v37, 8, v18
	v_lshlrev_b16 v36, 8, v36
	v_cndmask_b32_e64 v29, 23, v29, s4
	v_cmp_ne_u32_e64 s4, 13, v23
	v_or_b32_sdwa v28, v29, v28 dst_sel:WORD_1 dst_unused:UNUSED_PAD src0_sel:BYTE_0 src1_sel:DWORD
	v_cndmask_b32_e64 v37, 23, v37, s4
	v_cmp_ne_u32_e64 s4, 15, v23
	v_or_b32_sdwa v27, v27, v28 dst_sel:DWORD dst_unused:UNUSED_PAD src0_sel:WORD_0 src1_sel:DWORD
	v_lshlrev_b16 v37, 8, v37
	v_cndmask_b32_e64 v38, 23, v38, s4
	v_cmp_ne_u32_e64 s4, 12, v23
	v_lshlrev_b16 v38, 8, v38
	v_cndmask_b32_e64 v40, 23, v18, s4
	v_cmp_ne_u32_e64 s4, 14, v23
	v_or_b32_sdwa v37, v40, v37 dst_sel:DWORD dst_unused:UNUSED_PAD src0_sel:BYTE_0 src1_sel:DWORD
	v_cndmask_b32_e64 v41, 23, v41, s4
	v_cmp_ne_u32_e64 s4, 17, v23
	v_or_b32_sdwa v38, v41, v38 dst_sel:WORD_1 dst_unused:UNUSED_PAD src0_sel:BYTE_0 src1_sel:DWORD
	v_cndmask_b32_e64 v42, 23, v42, s4
	v_cmp_ne_u32_e64 s4, 19, v23
	v_cndmask_b32_e32 v41, v22, v17, vcc_lo
	v_or_b32_sdwa v29, v37, v38 dst_sel:DWORD dst_unused:UNUSED_PAD src0_sel:WORD_0 src1_sel:DWORD
	v_lshlrev_b16 v42, 8, v42
	v_cndmask_b32_e64 v43, 23, v43, s4
	v_cmp_ne_u32_e64 s4, 16, v23
	v_lshrrev_b32_e32 v72, 24, v41
	v_lshrrev_b32_e32 v74, 8, v41
	v_lshlrev_b16 v43, 8, v43
	v_cndmask_b32_e64 v45, 23, v21, s4
	v_cmp_ne_u32_e64 s4, 18, v23
	v_or_b32_sdwa v40, v45, v42 dst_sel:DWORD dst_unused:UNUSED_PAD src0_sel:BYTE_0 src1_sel:DWORD
	v_cndmask_b32_e64 v44, 23, v44, s4
	v_cmp_ne_u32_e64 s4, 10, v23
	v_cndmask_b32_e32 v45, v27, v20, vcc_lo
	v_or_b32_sdwa v42, v44, v43 dst_sel:WORD_1 dst_unused:UNUSED_PAD src0_sel:BYTE_0 src1_sel:DWORD
	v_cndmask_b32_e64 v39, 23, v39, s4
	v_cndmask_b32_e32 v43, v29, v18, vcc_lo
	v_cndmask_b32_e32 v44, v24, v19, vcc_lo
	v_lshrrev_b32_e32 v76, 24, v45
	v_or_b32_sdwa v25, v40, v42 dst_sel:DWORD dst_unused:UNUSED_PAD src0_sel:WORD_0 src1_sel:DWORD
	v_or_b32_sdwa v36, v39, v36 dst_sel:WORD_1 dst_unused:UNUSED_PAD src0_sel:BYTE_0 src1_sel:DWORD
	v_mul_f64 v[38:39], v[14:15], 0.5
	v_lshrrev_b64 v[46:47], 24, v[44:45]
	v_mov_b32_e32 v14, 0
	v_cndmask_b32_e32 v40, v25, v21, vcc_lo
	v_or_b32_sdwa v26, v26, v36 dst_sel:DWORD dst_unused:UNUSED_PAD src0_sel:WORD_0 src1_sel:DWORD
	v_mul_f64 v[36:37], v[12:13], 0.5
	v_mov_b32_e32 v12, 0
	v_lshrrev_b32_e32 v47, 16, v41
	v_lshrrev_b64 v[50:51], 24, v[40:41]
	v_cndmask_b32_e32 v42, v26, v16, vcc_lo
	v_add_nc_u32_e32 v51, v23, v10
	v_mov_b32_e32 v10, 0
	v_mov_b32_e32 v16, 0
	v_lshrrev_b32_e32 v73, 8, v40
	v_lshrrev_b64 v[48:49], 24, v[42:43]
	v_lshrrev_b32_e32 v49, 16, v40
	v_lshrrev_b32_e32 v79, 24, v43
	v_lshrrev_b32_e32 v70, 16, v43
	v_lshrrev_b32_e32 v82, 8, v43
	v_lshrrev_b32_e32 v71, 16, v42
	v_lshrrev_b32_e32 v80, 8, v42
	v_lshrrev_b32_e32 v78, 16, v45
	v_lshrrev_b32_e32 v81, 8, v45
	v_lshrrev_b32_e32 v77, 16, v44
	v_lshrrev_b32_e32 v75, 8, v44
	v_mov_b32_e32 v13, 0
	v_mov_b32_e32 v11, 0
	;; [unrolled: 1-line block ×4, first 2 shown]
	v_cmpx_ne_u32_e32 0, v51
	s_cbranch_execz .LBB2_284
; %bb.125:
	v_mov_b32_e32 v53, 0
	v_mov_b32_e32 v14, 0
	;; [unrolled: 1-line block ×5, first 2 shown]
	v_add_nc_u32_e32 v83, 0xa0, v69
	v_add_nc_u32_e32 v84, 0xa8, v69
	;; [unrolled: 1-line block ×4, first 2 shown]
	v_mov_b32_e32 v52, v53
	v_add_nc_u32_e32 v87, 0x98, v69
	v_add_nc_u32_e32 v88, -8, v69
	v_add_nc_u32_e32 v89, 0xa8, v69
	v_add_nc_u32_e32 v90, 24, v69
	;; [unrolled: 1-line block ×3, first 2 shown]
	v_mov_b32_e32 v15, 0
	v_mov_b32_e32 v92, 3
	;; [unrolled: 1-line block ×6, first 2 shown]
	s_mov_b32 s8, 0x55555555
	s_mov_b64 s[6:7], 0
	s_mov_b32 s9, 0x3fd55555
	s_branch .LBB2_127
.LBB2_126:                              ;   in Loop: Header=BB2_127 Depth=1
	s_or_b32 exec_lo, exec_lo, s4
	s_add_u32 s6, s6, 1
	s_addc_u32 s7, s7, 0
	v_cmp_eq_u64_e32 vcc_lo, s[6:7], v[51:52]
	s_or_b32 s10, vcc_lo, s10
	s_andn2_b32 exec_lo, exec_lo, s10
	s_cbranch_execz .LBB2_283
.LBB2_127:                              ; =>This Loop Header: Depth=1
                                        ;     Child Loop BB2_186 Depth 2
                                        ;     Child Loop BB2_200 Depth 2
                                        ;     Child Loop BB2_214 Depth 2
                                        ;     Child Loop BB2_227 Depth 2
                                        ;     Child Loop BB2_231 Depth 2
                                        ;     Child Loop BB2_244 Depth 2
                                        ;     Child Loop BB2_246 Depth 2
                                        ;     Child Loop BB2_250 Depth 2
                                        ;     Child Loop BB2_254 Depth 2
                                        ;     Child Loop BB2_268 Depth 2
                                        ;     Child Loop BB2_281 Depth 2
	s_cmp_eq_u32 s6, 1
	s_mov_b32 s4, exec_lo
	s_cselect_b32 vcc_lo, -1, 0
	s_cmp_eq_u32 s6, 2
	v_cndmask_b32_e32 v18, v44, v75, vcc_lo
	s_cselect_b32 vcc_lo, -1, 0
	s_cmp_eq_u32 s6, 3
                                        ; implicit-def: $vgpr26
                                        ; implicit-def: $vgpr23
                                        ; implicit-def: $vgpr19
                                        ; implicit-def: $vgpr24
                                        ; implicit-def: $vgpr20
                                        ; implicit-def: $vgpr21
	v_cndmask_b32_e32 v18, v18, v77, vcc_lo
	s_cselect_b32 vcc_lo, -1, 0
	s_cmp_eq_u32 s6, 4
	v_cndmask_b32_e32 v18, v18, v46, vcc_lo
	s_cselect_b32 vcc_lo, -1, 0
	s_cmp_eq_u32 s6, 5
	;; [unrolled: 3-line block ×20, first 2 shown]
	v_cndmask_b32_e32 v18, v18, v47, vcc_lo
	s_cselect_b32 vcc_lo, -1, 0
	v_cndmask_b32_e32 v25, v18, v72, vcc_lo
                                        ; implicit-def: $vgpr18
	v_bfe_u32 v22, v25, 2, 6
	v_cmpx_lt_i32_e32 1, v22
	s_xor_b32 s4, exec_lo, s4
	s_cbranch_execz .LBB2_139
; %bb.128:                              ;   in Loop: Header=BB2_127 Depth=1
	s_mov_b32 s11, exec_lo
                                        ; implicit-def: $vgpr26
                                        ; implicit-def: $vgpr18
                                        ; implicit-def: $vgpr23
                                        ; implicit-def: $vgpr19
                                        ; implicit-def: $vgpr24
                                        ; implicit-def: $vgpr20
                                        ; implicit-def: $vgpr21
	v_cmpx_lt_i32_e32 2, v22
	s_xor_b32 s11, exec_lo, s11
	s_cbranch_execz .LBB2_136
; %bb.129:                              ;   in Loop: Header=BB2_127 Depth=1
	s_mov_b32 s12, exec_lo
                                        ; implicit-def: $vgpr26
                                        ; implicit-def: $vgpr18
                                        ; implicit-def: $vgpr23
                                        ; implicit-def: $vgpr19
                                        ; implicit-def: $vgpr24
                                        ; implicit-def: $vgpr20
                                        ; implicit-def: $vgpr21
	v_cmpx_lt_i32_e32 3, v22
	s_xor_b32 s12, exec_lo, s12
	s_cbranch_execz .LBB2_133
; %bb.130:                              ;   in Loop: Header=BB2_127 Depth=1
	s_mov_b32 s13, exec_lo
	v_cmpx_ne_u32_e32 4, v22
	s_xor_b32 s13, exec_lo, s13
	s_or_saveexec_b32 s13, s13
	v_mov_b32_e32 v22, 4
	v_mov_b32_e32 v24, 6
	;; [unrolled: 1-line block ×8, first 2 shown]
	s_xor_b32 exec_lo, exec_lo, s13
	s_cbranch_execz .LBB2_132
; %bb.131:                              ;   in Loop: Header=BB2_127 Depth=1
	v_mov_b32_e32 v22, 0
	v_mov_b32_e32 v24, 1
	;; [unrolled: 1-line block ×8, first 2 shown]
.LBB2_132:                              ;   in Loop: Header=BB2_127 Depth=1
	s_or_b32 exec_lo, exec_lo, s13
.LBB2_133:                              ;   in Loop: Header=BB2_127 Depth=1
	s_andn2_saveexec_b32 s12, s12
	s_cbranch_execz .LBB2_135
; %bb.134:                              ;   in Loop: Header=BB2_127 Depth=1
	v_mov_b32_e32 v22, 2
	v_mov_b32_e32 v24, 3
	;; [unrolled: 1-line block ×8, first 2 shown]
.LBB2_135:                              ;   in Loop: Header=BB2_127 Depth=1
	s_or_b32 exec_lo, exec_lo, s12
.LBB2_136:                              ;   in Loop: Header=BB2_127 Depth=1
	s_andn2_saveexec_b32 s11, s11
	s_cbranch_execz .LBB2_138
; %bb.137:                              ;   in Loop: Header=BB2_127 Depth=1
	v_mov_b32_e32 v22, 0
	v_mov_b32_e32 v24, 4
	;; [unrolled: 1-line block ×8, first 2 shown]
.LBB2_138:                              ;   in Loop: Header=BB2_127 Depth=1
	s_or_b32 exec_lo, exec_lo, s11
.LBB2_139:                              ;   in Loop: Header=BB2_127 Depth=1
	s_andn2_saveexec_b32 s4, s4
	s_cbranch_execz .LBB2_143
; %bb.140:                              ;   in Loop: Header=BB2_127 Depth=1
	v_mov_b32_e32 v24, 2
	v_mov_b32_e32 v23, 6
	;; [unrolled: 1-line block ×7, first 2 shown]
	s_mov_b32 s11, exec_lo
	v_cmpx_lt_i32_e32 0, v22
	s_cbranch_execz .LBB2_142
; %bb.141:                              ;   in Loop: Header=BB2_127 Depth=1
	v_mov_b32_e32 v22, 1
	v_mov_b32_e32 v24, 5
	;; [unrolled: 1-line block ×8, first 2 shown]
.LBB2_142:                              ;   in Loop: Header=BB2_127 Depth=1
	s_or_b32 exec_lo, exec_lo, s11
.LBB2_143:                              ;   in Loop: Header=BB2_127 Depth=1
	s_or_b32 exec_lo, exec_lo, s4
	v_lshl_add_u32 v29, v22, 3, 0xd0
	v_lshl_add_u32 v62, v24, 3, 0xd0
	s_clause 0x7
	buffer_load_dword v27, v21, s[0:3], 0 offen
	buffer_load_dword v28, v21, s[0:3], 0 offen offset:4
	buffer_load_dword v54, v20, s[0:3], 0 offen
	buffer_load_dword v55, v20, s[0:3], 0 offen offset:4
	buffer_load_dword v20, v29, s[0:3], 0 offen offset:64
	buffer_load_dword v21, v29, s[0:3], 0 offen offset:68
	buffer_load_dword v56, v62, s[0:3], 0 offen offset:64
	buffer_load_dword v57, v62, s[0:3], 0 offen offset:68
	v_lshl_add_u32 v68, v23, 3, 0xd0
	s_clause 0x7
	buffer_load_dword v58, v19, s[0:3], 0 offen
	buffer_load_dword v59, v19, s[0:3], 0 offen offset:4
	buffer_load_dword v60, v68, s[0:3], 0 offen offset:64
	;; [unrolled: 1-line block ×7, first 2 shown]
	v_lshl_add_u32 v29, v26, 3, 0xd0
	s_clause 0x7
	buffer_load_dword v66, v18, s[0:3], 0 offen
	buffer_load_dword v67, v18, s[0:3], 0 offen offset:4
	buffer_load_dword v18, v29, s[0:3], 0 offen offset:64
	;; [unrolled: 1-line block ×7, first 2 shown]
	s_mov_b32 s4, exec_lo
	s_waitcnt vmcnt(20)
	v_add_f64 v[27:28], v[27:28], v[54:55]
	s_waitcnt vmcnt(16)
	v_add_f64 v[20:21], v[20:21], v[56:57]
	;; [unrolled: 2-line block ×3, first 2 shown]
	v_add_f64 v[27:28], v[27:28], v[58:59]
	v_add_f64 v[20:21], v[20:21], v[60:61]
	s_waitcnt vmcnt(6)
	v_add_f64 v[27:28], v[27:28], v[66:67]
	s_waitcnt vmcnt(4)
	;; [unrolled: 2-line block ×3, first 2 shown]
	v_add_f64 v[20:21], v[54:55], v[96:97]
	v_fma_f64 v[27:28], 0x3fd00000, v[27:28], -v[0:1]
	v_fma_f64 v[18:19], 0x3fd00000, v[18:19], -v[4:5]
	s_waitcnt vmcnt(0)
	v_add_f64 v[54:55], v[20:21], v[94:95]
	v_mul_f64 v[20:21], v[32:33], v[27:28]
	v_mul_f64 v[18:19], v[6:7], v[18:19]
	v_fma_f64 v[27:28], 0x3fd00000, v[54:55], -v[8:9]
	ds_write2_b64 v69, v[20:21], v[18:19] offset0:1 offset1:11
	ds_write_b64 v69, v[27:28] offset:168
	v_and_b32_sdwa v27, v25, v92 dst_sel:DWORD dst_unused:UNUSED_PAD src0_sel:BYTE_0 src1_sel:DWORD
                                        ; implicit-def: $vgpr25
	v_cmpx_lt_i32_e32 1, v27
	s_xor_b32 s4, exec_lo, s4
	s_cbranch_execz .LBB2_149
; %bb.144:                              ;   in Loop: Header=BB2_127 Depth=1
	s_mov_b32 s11, exec_lo
	v_cmpx_lt_i32_e32 2, v27
	s_xor_b32 s11, exec_lo, s11
; %bb.145:                              ;   in Loop: Header=BB2_127 Depth=1
                                        ; implicit-def: $vgpr23
; %bb.146:                              ;   in Loop: Header=BB2_127 Depth=1
	s_or_saveexec_b32 s11, s11
	v_mov_b32_e32 v25, v26
	s_xor_b32 exec_lo, exec_lo, s11
; %bb.147:                              ;   in Loop: Header=BB2_127 Depth=1
	v_mov_b32_e32 v25, v23
	v_mov_b32_e32 v22, v26
; %bb.148:                              ;   in Loop: Header=BB2_127 Depth=1
	s_or_b32 exec_lo, exec_lo, s11
                                        ; implicit-def: $vgpr24
                                        ; implicit-def: $vgpr23
                                        ; implicit-def: $vgpr27
.LBB2_149:                              ;   in Loop: Header=BB2_127 Depth=1
	s_andn2_saveexec_b32 s4, s4
	s_cbranch_execz .LBB2_153
; %bb.150:                              ;   in Loop: Header=BB2_127 Depth=1
	s_mov_b32 s11, exec_lo
	v_cmpx_eq_u32_e32 1, v27
; %bb.151:                              ;   in Loop: Header=BB2_127 Depth=1
	v_mov_b32_e32 v22, v24
	v_mov_b32_e32 v24, v23
; %bb.152:                              ;   in Loop: Header=BB2_127 Depth=1
	s_or_b32 exec_lo, exec_lo, s11
	v_mov_b32_e32 v25, v22
	v_mov_b32_e32 v22, v24
.LBB2_153:                              ;   in Loop: Header=BB2_127 Depth=1
	s_or_b32 exec_lo, exec_lo, s4
	v_lshl_add_u32 v25, v25, 3, 0xd0
	v_lshl_add_u32 v22, v22, 3, 0xd0
	s_mov_b32 s4, 0
	s_mov_b32 s11, exec_lo
                                        ; implicit-def: $vgpr63
	s_clause 0xb
	buffer_load_dword v24, v25, s[0:3], 0 offen offset:68
	buffer_load_dword v26, v25, s[0:3], 0 offen offset:128
	;; [unrolled: 1-line block ×3, first 2 shown]
	buffer_load_dword v28, v25, s[0:3], 0 offen
	buffer_load_dword v29, v25, s[0:3], 0 offen offset:4
	buffer_load_dword v54, v22, s[0:3], 0 offen
	buffer_load_dword v55, v22, s[0:3], 0 offen offset:4
	buffer_load_dword v57, v22, s[0:3], 0 offen offset:68
	buffer_load_dword v61, v22, s[0:3], 0 offen offset:128
	buffer_load_dword v56, v22, s[0:3], 0 offen offset:64
	buffer_load_dword v27, v25, s[0:3], 0 offen offset:132
	buffer_load_dword v62, v22, s[0:3], 0 offen offset:132
	s_waitcnt vmcnt(1)
	v_add_f64 v[26:27], v[26:27], -v[8:9]
	v_add_f64 v[22:23], v[23:24], -v[4:5]
	;; [unrolled: 1-line block ×5, first 2 shown]
	v_mul_f64 v[59:60], v[6:7], v[22:23]
	v_mul_f64 v[57:58], v[32:33], v[24:25]
	;; [unrolled: 1-line block ×4, first 2 shown]
	s_waitcnt vmcnt(0)
	v_add_f64 v[28:29], v[61:62], -v[8:9]
                                        ; implicit-def: $vgpr55_vgpr56
	ds_write2_b64 v69, v[57:58], v[22:23] offset1:2
	ds_write2_b64 v69, v[59:60], v[24:25] offset0:10 offset1:12
	ds_write2_b64 v69, v[26:27], v[28:29] offset0:20 offset1:22
	v_cmpx_ngt_f64_e32 1.0, v[59:60]
	s_xor_b32 s11, exec_lo, s11
	s_cbranch_execz .LBB2_157
; %bb.154:                              ;   in Loop: Header=BB2_127 Depth=1
	v_mov_b32_e32 v63, 9
	s_mov_b32 s12, exec_lo
                                        ; implicit-def: $vgpr55_vgpr56
	v_cmpx_gt_f64_e32 1.0, v[24:25]
	s_xor_b32 s12, exec_lo, s12
	s_cbranch_execz .LBB2_156
; %bb.155:                              ;   in Loop: Header=BB2_127 Depth=1
	v_add_f64 v[54:55], v[59:60], -v[24:25]
	v_add_f64 v[59:60], -v[24:25], 1.0
	v_add_f64 v[57:58], v[57:58], -v[22:23]
	s_mov_b32 s4, exec_lo
	v_div_scale_f64 v[61:62], null, v[54:55], v[54:55], v[59:60]
	v_div_scale_f64 v[67:68], vcc_lo, v[59:60], v[54:55], v[59:60]
	v_rcp_f64_e32 v[63:64], v[61:62]
	v_fma_f64 v[65:66], -v[61:62], v[63:64], 1.0
	v_fma_f64 v[63:64], v[63:64], v[65:66], v[63:64]
	v_fma_f64 v[65:66], -v[61:62], v[63:64], 1.0
	v_fma_f64 v[63:64], v[63:64], v[65:66], v[63:64]
	v_mul_f64 v[65:66], v[67:68], v[63:64]
	v_fma_f64 v[61:62], -v[61:62], v[65:66], v[67:68]
	v_div_fmas_f64 v[61:62], v[61:62], v[63:64], v[65:66]
	v_mov_b32_e32 v63, 8
	v_div_fixup_f64 v[55:56], v[61:62], v[54:55], v[59:60]
	v_mov_b32_e32 v54, v93
	v_fma_f64 v[57:58], v[57:58], v[55:56], v[22:23]
	ds_write2_b64 v69, v[57:58], v[53:54] offset0:9 offset1:19
.LBB2_156:                              ;   in Loop: Header=BB2_127 Depth=1
	s_or_b32 exec_lo, exec_lo, s12
	s_and_b32 s4, s4, exec_lo
                                        ; implicit-def: $vgpr57_vgpr58
                                        ; implicit-def: $vgpr59_vgpr60
.LBB2_157:                              ;   in Loop: Header=BB2_127 Depth=1
	s_or_saveexec_b32 s11, s11
	v_mov_b32_e32 v62, v29
	v_mov_b32_e32 v64, 9
	;; [unrolled: 1-line block ×3, first 2 shown]
	s_xor_b32 exec_lo, exec_lo, s11
	s_cbranch_execz .LBB2_161
; %bb.158:                              ;   in Loop: Header=BB2_127 Depth=1
	v_mov_b32_e32 v64, 8
	v_mov_b32_e32 v63, 8
	s_mov_b32 s13, s4
	s_mov_b32 s12, exec_lo
	ds_write2_b64 v69, v[57:58], v[59:60] offset0:9 offset1:19
	ds_write_b64 v69, v[26:27] offset:232
                                        ; implicit-def: $vgpr55_vgpr56
	v_cmpx_le_f64_e32 1.0, v[24:25]
	s_cbranch_execz .LBB2_160
; %bb.159:                              ;   in Loop: Header=BB2_127 Depth=1
	v_add_f64 v[54:55], v[24:25], -v[59:60]
	v_add_f64 v[59:60], -v[59:60], 1.0
	v_mov_b32_e32 v63, 7
	s_or_b32 s13, s4, exec_lo
	v_div_scale_f64 v[61:62], null, v[54:55], v[54:55], v[59:60]
	v_div_scale_f64 v[94:95], vcc_lo, v[59:60], v[54:55], v[59:60]
	v_rcp_f64_e32 v[65:66], v[61:62]
	v_fma_f64 v[67:68], -v[61:62], v[65:66], 1.0
	v_fma_f64 v[65:66], v[65:66], v[67:68], v[65:66]
	v_fma_f64 v[67:68], -v[61:62], v[65:66], 1.0
	v_fma_f64 v[65:66], v[65:66], v[67:68], v[65:66]
	v_mul_f64 v[67:68], v[94:95], v[65:66]
	v_fma_f64 v[61:62], -v[61:62], v[67:68], v[94:95]
	v_div_fmas_f64 v[61:62], v[61:62], v[65:66], v[67:68]
	v_div_fixup_f64 v[55:56], v[61:62], v[54:55], v[59:60]
	v_add_f64 v[59:60], v[22:23], -v[57:58]
	v_mov_b32_e32 v54, v93
	v_fma_f64 v[57:58], v[59:60], v[55:56], v[57:58]
	ds_write2_b64 v69, v[57:58], v[53:54] offset0:8 offset1:18
.LBB2_160:                              ;   in Loop: Header=BB2_127 Depth=1
	s_or_b32 exec_lo, exec_lo, s12
	v_mov_b32_e32 v62, v27
	v_mov_b32_e32 v61, v26
	;; [unrolled: 1-line block ×4, first 2 shown]
	s_andn2_b32 s4, s4, exec_lo
	s_and_b32 s12, s13, exec_lo
	s_or_b32 s4, s4, s12
.LBB2_161:                              ;   in Loop: Header=BB2_127 Depth=1
	s_or_b32 exec_lo, exec_lo, s11
	s_and_saveexec_b32 s11, s4
	s_cbranch_execz .LBB2_163
; %bb.162:                              ;   in Loop: Header=BB2_127 Depth=1
	v_add_f64 v[26:27], v[26:27], -v[61:62]
	v_lshl_add_u32 v28, v64, 3, v69
	v_fma_f64 v[26:27], v[55:56], v[26:27], v[61:62]
	ds_write_b64 v28, v[26:27] offset:160
.LBB2_163:                              ;   in Loop: Header=BB2_127 Depth=1
	s_or_b32 exec_lo, exec_lo, s11
	s_mov_b32 s4, 0
	s_mov_b32 s11, exec_lo
                                        ; implicit-def: $vgpr26_vgpr27
                                        ; implicit-def: $vgpr28_vgpr29
	v_cmpx_ngt_f64_e32 1.0, v[24:25]
	s_xor_b32 s11, exec_lo, s11
	s_cbranch_execz .LBB2_167
; %bb.164:                              ;   in Loop: Header=BB2_127 Depth=1
	s_mov_b32 s12, exec_lo
                                        ; implicit-def: $vgpr26_vgpr27
                                        ; implicit-def: $vgpr28_vgpr29
	v_cmpx_gt_f64_e32 1.0, v[18:19]
	s_cbranch_execz .LBB2_166
; %bb.165:                              ;   in Loop: Header=BB2_127 Depth=1
	v_add_f64 v[24:25], v[24:25], -v[18:19]
	v_add_f64 v[26:27], -v[18:19], 1.0
	v_add_f64 v[22:23], v[22:23], -v[20:21]
	s_mov_b32 s4, exec_lo
	v_div_scale_f64 v[28:29], null, v[24:25], v[24:25], v[26:27]
	v_div_scale_f64 v[58:59], vcc_lo, v[26:27], v[24:25], v[26:27]
	v_rcp_f64_e32 v[54:55], v[28:29]
	v_fma_f64 v[56:57], -v[28:29], v[54:55], 1.0
	v_fma_f64 v[54:55], v[54:55], v[56:57], v[54:55]
	v_fma_f64 v[56:57], -v[28:29], v[54:55], 1.0
	v_fma_f64 v[54:55], v[54:55], v[56:57], v[54:55]
	v_mul_f64 v[56:57], v[58:59], v[54:55]
	v_fma_f64 v[28:29], -v[28:29], v[56:57], v[58:59]
	v_div_fmas_f64 v[28:29], v[28:29], v[54:55], v[56:57]
	v_mov_b32_e32 v54, v93
	v_div_fixup_f64 v[26:27], v[28:29], v[24:25], v[26:27]
	v_fma_f64 v[28:29], v[22:23], v[26:27], v[20:21]
	v_lshl_add_u32 v20, v63, 3, v69
	ds_write_b64 v20, v[53:54] offset:80
.LBB2_166:                              ;   in Loop: Header=BB2_127 Depth=1
	s_or_b32 exec_lo, exec_lo, s12
	s_and_b32 s4, s4, exec_lo
                                        ; implicit-def: $vgpr22_vgpr23
                                        ; implicit-def: $vgpr24_vgpr25
.LBB2_167:                              ;   in Loop: Header=BB2_127 Depth=1
	s_or_saveexec_b32 s11, s11
	v_mov_b32_e32 v21, 2
	v_mov_b32_e32 v20, -1
	v_mov_b32_e32 v54, v84
	v_mov_b32_e32 v55, v63
	s_xor_b32 exec_lo, exec_lo, s11
	s_cbranch_execz .LBB2_171
; %bb.168:                              ;   in Loop: Header=BB2_127 Depth=1
	v_lshl_add_u32 v55, v63, 3, v69
	s_mov_b32 s13, s4
	s_mov_b32 s12, exec_lo
                                        ; implicit-def: $vgpr26_vgpr27
                                        ; implicit-def: $vgpr28_vgpr29
	ds_write2_b64 v55, v[22:23], v[24:25] offset1:10
	ds_read2_b64 v[18:21], v69 offset0:11 offset1:22
	s_waitcnt lgkmcnt(0)
	ds_write_b64 v55, v[20:21] offset:160
	v_cmpx_le_f64_e32 1.0, v[18:19]
	s_cbranch_execz .LBB2_170
; %bb.169:                              ;   in Loop: Header=BB2_127 Depth=1
	ds_read_b64 v[24:25], v69 offset:96
	ds_read2_b64 v[20:23], v69 offset0:1 offset1:2
	v_mov_b32_e32 v54, v93
	s_or_b32 s13, s4, exec_lo
	ds_write_b64 v55, v[53:54] offset:72
	s_waitcnt lgkmcnt(2)
	v_add_f64 v[26:27], v[18:19], -v[24:25]
	v_add_f64 v[24:25], -v[24:25], 1.0
	s_waitcnt lgkmcnt(1)
	v_add_f64 v[20:21], v[20:21], -v[22:23]
	v_div_scale_f64 v[28:29], null, v[26:27], v[26:27], v[24:25]
	v_div_scale_f64 v[60:61], vcc_lo, v[24:25], v[26:27], v[24:25]
	v_rcp_f64_e32 v[56:57], v[28:29]
	v_fma_f64 v[58:59], -v[28:29], v[56:57], 1.0
	v_fma_f64 v[56:57], v[56:57], v[58:59], v[56:57]
	v_fma_f64 v[58:59], -v[28:29], v[56:57], 1.0
	v_fma_f64 v[56:57], v[56:57], v[58:59], v[56:57]
	v_mul_f64 v[58:59], v[60:61], v[56:57]
	v_fma_f64 v[28:29], -v[28:29], v[58:59], v[60:61]
	v_div_fmas_f64 v[28:29], v[28:29], v[56:57], v[58:59]
	v_div_fixup_f64 v[26:27], v[28:29], v[26:27], v[24:25]
	v_fma_f64 v[28:29], v[26:27], v[20:21], v[22:23]
.LBB2_170:                              ;   in Loop: Header=BB2_127 Depth=1
	s_or_b32 exec_lo, exec_lo, s12
	v_add_nc_u32_e32 v55, -1, v63
	v_mov_b32_e32 v21, 1
	v_mov_b32_e32 v20, -2
	v_mov_b32_e32 v54, v85
	s_andn2_b32 s4, s4, exec_lo
	s_and_b32 s12, s13, exec_lo
	s_or_b32 s4, s4, s12
.LBB2_171:                              ;   in Loop: Header=BB2_127 Depth=1
	s_or_b32 exec_lo, exec_lo, s11
	s_and_saveexec_b32 s11, s4
	s_cbranch_execz .LBB2_173
; %bb.172:                              ;   in Loop: Header=BB2_127 Depth=1
	v_lshl_add_u32 v25, v55, 3, v69
	v_lshl_add_u32 v18, v21, 3, v69
	v_add_nc_u32_e32 v55, v20, v63
	ds_write_b64 v25, v[28:29]
	ds_read_b64 v[21:22], v54
	ds_read_b64 v[23:24], v18 offset:160
	ds_read_b64 v[18:19], v69 offset:88
	s_waitcnt lgkmcnt(1)
	v_add_f64 v[23:24], v[23:24], -v[21:22]
	v_fma_f64 v[21:22], v[26:27], v[23:24], v[21:22]
	ds_write_b64 v25, v[21:22] offset:160
.LBB2_173:                              ;   in Loop: Header=BB2_127 Depth=1
	s_or_b32 exec_lo, exec_lo, s11
	s_mov_b32 s4, 0
	s_mov_b32 s11, exec_lo
                                        ; implicit-def: $vgpr20_vgpr21
                                        ; implicit-def: $vgpr22_vgpr23
	s_waitcnt lgkmcnt(1)
	v_cmpx_ngt_f64_e32 1.0, v[18:19]
	s_xor_b32 s11, exec_lo, s11
	s_cbranch_execz .LBB2_177
; %bb.174:                              ;   in Loop: Header=BB2_127 Depth=1
	ds_read_b64 v[24:25], v69 offset:80
	s_mov_b32 s12, exec_lo
                                        ; implicit-def: $vgpr20_vgpr21
                                        ; implicit-def: $vgpr22_vgpr23
	s_waitcnt lgkmcnt(0)
	v_cmpx_gt_f64_e32 1.0, v[24:25]
	s_cbranch_execz .LBB2_176
; %bb.175:                              ;   in Loop: Header=BB2_127 Depth=1
	v_add_f64 v[18:19], v[18:19], -v[24:25]
	v_add_f64 v[20:21], -v[24:25], 1.0
	v_mov_b32_e32 v54, v93
	s_mov_b32 s4, exec_lo
	v_div_scale_f64 v[22:23], null, v[18:19], v[18:19], v[20:21]
	v_div_scale_f64 v[28:29], vcc_lo, v[20:21], v[18:19], v[20:21]
	v_rcp_f64_e32 v[24:25], v[22:23]
	v_fma_f64 v[26:27], -v[22:23], v[24:25], 1.0
	v_fma_f64 v[24:25], v[24:25], v[26:27], v[24:25]
	v_fma_f64 v[26:27], -v[22:23], v[24:25], 1.0
	v_fma_f64 v[24:25], v[24:25], v[26:27], v[24:25]
	v_mul_f64 v[26:27], v[28:29], v[24:25]
	v_fma_f64 v[22:23], -v[22:23], v[26:27], v[28:29]
	v_div_fmas_f64 v[26:27], v[22:23], v[24:25], v[26:27]
	ds_read2_b64 v[22:25], v69 offset1:1
	v_div_fixup_f64 v[20:21], v[26:27], v[18:19], v[20:21]
	s_waitcnt lgkmcnt(0)
	v_add_f64 v[18:19], v[24:25], -v[22:23]
	v_fma_f64 v[22:23], v[20:21], v[18:19], v[22:23]
	v_lshl_add_u32 v18, v55, 3, v69
	ds_write_b64 v18, v[53:54] offset:80
.LBB2_176:                              ;   in Loop: Header=BB2_127 Depth=1
	s_or_b32 exec_lo, exec_lo, s12
	s_and_b32 s4, s4, exec_lo
                                        ; implicit-def: $vgpr18_vgpr19
.LBB2_177:                              ;   in Loop: Header=BB2_127 Depth=1
	s_or_saveexec_b32 s11, s11
	v_mov_b32_e32 v26, 1
	v_mov_b32_e32 v25, -1
	v_mov_b32_e32 v27, v83
	v_mov_b32_e32 v24, v55
	s_xor_b32 exec_lo, exec_lo, s11
	s_cbranch_execz .LBB2_181
; %bb.178:                              ;   in Loop: Header=BB2_127 Depth=1
	ds_read_b64 v[20:21], v69 offset:8
	v_lshl_add_u32 v24, v55, 3, v69
	s_mov_b32 s13, s4
	s_mov_b32 s12, exec_lo
                                        ; implicit-def: $vgpr22_vgpr23
	s_waitcnt lgkmcnt(0)
	ds_write2_b64 v24, v[20:21], v[18:19] offset1:10
	ds_read2_b64 v[18:21], v69 offset0:10 offset1:21
	s_waitcnt lgkmcnt(0)
	ds_write_b64 v24, v[20:21] offset:160
                                        ; implicit-def: $vgpr20_vgpr21
	v_cmpx_le_f64_e32 1.0, v[18:19]
	s_cbranch_execz .LBB2_180
; %bb.179:                              ;   in Loop: Header=BB2_127 Depth=1
	ds_read_b64 v[20:21], v69 offset:88
	ds_read2_b64 v[25:28], v69 offset1:1
	v_mov_b32_e32 v54, v93
	s_or_b32 s13, s4, exec_lo
	ds_write_b64 v24, v[53:54] offset:72
	s_waitcnt lgkmcnt(2)
	v_add_f64 v[18:19], v[18:19], -v[20:21]
	v_add_f64 v[20:21], -v[20:21], 1.0
	v_div_scale_f64 v[22:23], null, v[18:19], v[18:19], v[20:21]
	v_div_scale_f64 v[60:61], vcc_lo, v[20:21], v[18:19], v[20:21]
	v_rcp_f64_e32 v[56:57], v[22:23]
	v_fma_f64 v[58:59], -v[22:23], v[56:57], 1.0
	v_fma_f64 v[56:57], v[56:57], v[58:59], v[56:57]
	v_fma_f64 v[58:59], -v[22:23], v[56:57], 1.0
	v_fma_f64 v[56:57], v[56:57], v[58:59], v[56:57]
	v_mul_f64 v[58:59], v[60:61], v[56:57]
	v_fma_f64 v[22:23], -v[22:23], v[58:59], v[60:61]
	v_div_fmas_f64 v[22:23], v[22:23], v[56:57], v[58:59]
	v_div_fixup_f64 v[20:21], v[22:23], v[18:19], v[20:21]
	s_waitcnt lgkmcnt(1)
	v_add_f64 v[18:19], v[25:26], -v[27:28]
	v_fma_f64 v[22:23], v[20:21], v[18:19], v[27:28]
.LBB2_180:                              ;   in Loop: Header=BB2_127 Depth=1
	s_or_b32 exec_lo, exec_lo, s12
	v_add_nc_u32_e32 v24, -1, v55
	v_mov_b32_e32 v26, 0
	v_mov_b32_e32 v25, -2
	v_mov_b32_e32 v27, v84
	s_andn2_b32 s4, s4, exec_lo
	s_and_b32 s12, s13, exec_lo
	s_or_b32 s4, s4, s12
.LBB2_181:                              ;   in Loop: Header=BB2_127 Depth=1
	s_or_b32 exec_lo, exec_lo, s11
	s_and_saveexec_b32 s11, s4
	s_cbranch_execz .LBB2_183
; %bb.182:                              ;   in Loop: Header=BB2_127 Depth=1
	v_lshl_add_u32 v28, v24, 3, v69
	v_lshl_add_u32 v24, v26, 3, v69
	ds_write_b64 v28, v[22:23]
	ds_read_b64 v[18:19], v27
	ds_read_b64 v[22:23], v24 offset:160
	v_add_nc_u32_e32 v24, v25, v55
	s_waitcnt lgkmcnt(0)
	v_add_f64 v[22:23], v[22:23], -v[18:19]
	v_fma_f64 v[18:19], v[20:21], v[22:23], v[18:19]
	ds_write_b64 v28, v[18:19] offset:160
.LBB2_183:                              ;   in Loop: Header=BB2_127 Depth=1
	s_or_b32 exec_lo, exec_lo, s11
	v_add_nc_u32_e32 v18, 1, v24
	v_mov_b32_e32 v28, 0
	s_mov_b32 s4, exec_lo
	v_cmpx_ne_u32_e32 10, v18
	s_cbranch_execz .LBB2_197
; %bb.184:                              ;   in Loop: Header=BB2_127 Depth=1
	v_add_co_u32 v20, s11, v24, -9
	v_mov_b32_e32 v19, v53
	v_lshl_add_u32 v29, v24, 3, v86
	v_add_co_ci_u32_e64 v21, null, 0, -1, s11
	v_mov_b32_e32 v28, 0
	s_mov_b32 s11, 0
	v_mov_b32_e32 v22, 9
	v_mov_b32_e32 v23, 0
	s_branch .LBB2_186
.LBB2_185:                              ;   in Loop: Header=BB2_186 Depth=2
	s_or_b32 exec_lo, exec_lo, s13
	v_add_co_u32 v20, vcc_lo, v20, 1
	v_add_co_ci_u32_e64 v21, null, 0, v21, vcc_lo
	v_add_co_u32 v24, vcc_lo, v18, 1
	v_add_co_ci_u32_e64 v25, null, 0, v19, vcc_lo
	v_cmp_eq_u64_e32 vcc_lo, 0, v[20:21]
	v_mov_b32_e32 v23, v19
	v_mov_b32_e32 v22, v18
	;; [unrolled: 1-line block ×3, first 2 shown]
	v_add_nc_u32_e32 v29, 8, v29
	v_mov_b32_e32 v19, v25
	s_or_b32 s11, vcc_lo, s11
	s_andn2_b32 exec_lo, exec_lo, s11
	s_cbranch_execz .LBB2_196
.LBB2_186:                              ;   Parent Loop BB2_127 Depth=1
                                        ; =>  This Inner Loop Header: Depth=2
	v_lshl_add_u32 v55, v22, 3, v69
	s_mov_b32 s12, 0
	s_mov_b32 s13, exec_lo
                                        ; implicit-def: $vgpr22_vgpr23
	ds_read_b64 v[24:25], v55 offset:80
	s_waitcnt lgkmcnt(0)
	v_cmpx_le_f64_e32 0, v[24:25]
	s_xor_b32 s13, exec_lo, s13
	s_cbranch_execnz .LBB2_189
; %bb.187:                              ;   in Loop: Header=BB2_186 Depth=2
	s_andn2_saveexec_b32 s13, s13
	s_cbranch_execnz .LBB2_192
.LBB2_188:                              ;   in Loop: Header=BB2_186 Depth=2
	s_or_b32 exec_lo, exec_lo, s13
	s_and_saveexec_b32 s13, s12
	s_cbranch_execz .LBB2_185
	s_branch .LBB2_195
.LBB2_189:                              ;   in Loop: Header=BB2_186 Depth=2
	v_lshl_add_u32 v26, v28, 3, v69
	s_mov_b32 s14, exec_lo
	ds_write_b64 v26, v[24:25] offset:80
	ds_read_b64 v[22:23], v55
	s_waitcnt lgkmcnt(0)
	ds_write_b64 v26, v[22:23]
	ds_read_b64 v[22:23], v55 offset:160
	s_waitcnt lgkmcnt(0)
	ds_write_b64 v26, v[22:23] offset:160
	ds_read_b64 v[24:25], v29 offset:80
                                        ; implicit-def: $vgpr22_vgpr23
	s_waitcnt lgkmcnt(0)
	v_cmpx_gt_f64_e32 0, v[24:25]
	s_cbranch_execz .LBB2_191
; %bb.190:                              ;   in Loop: Header=BB2_186 Depth=2
	ds_read_b64 v[22:23], v55 offset:80
	v_add_f64 v[56:57], -v[24:25], 0
	v_mov_b32_e32 v54, v53
	s_mov_b32 s12, exec_lo
	ds_write_b64 v26, v[53:54] offset:88
	s_waitcnt lgkmcnt(1)
	v_add_f64 v[22:23], v[22:23], -v[24:25]
	v_div_scale_f64 v[24:25], null, v[22:23], v[22:23], v[56:57]
	v_div_scale_f64 v[62:63], vcc_lo, v[56:57], v[22:23], v[56:57]
	v_rcp_f64_e32 v[58:59], v[24:25]
	v_fma_f64 v[60:61], -v[24:25], v[58:59], 1.0
	v_fma_f64 v[58:59], v[58:59], v[60:61], v[58:59]
	v_fma_f64 v[60:61], -v[24:25], v[58:59], 1.0
	v_fma_f64 v[58:59], v[58:59], v[60:61], v[58:59]
	v_mul_f64 v[60:61], v[62:63], v[58:59]
	v_fma_f64 v[24:25], -v[24:25], v[60:61], v[62:63]
	ds_read_b64 v[62:63], v29
	v_div_fmas_f64 v[24:25], v[24:25], v[58:59], v[60:61]
	ds_read_b64 v[58:59], v55
	s_waitcnt lgkmcnt(0)
	v_add_f64 v[58:59], v[58:59], -v[62:63]
	v_div_fixup_f64 v[22:23], v[24:25], v[22:23], v[56:57]
	v_fma_f64 v[24:25], v[22:23], v[58:59], v[62:63]
	ds_write_b64 v26, v[24:25] offset:8
	ds_read_b64 v[24:25], v29 offset:160
	ds_read_b64 v[26:27], v55 offset:160
	s_waitcnt lgkmcnt(0)
	v_add_f64 v[26:27], v[26:27], -v[24:25]
	v_fma_f64 v[22:23], v[22:23], v[26:27], v[24:25]
.LBB2_191:                              ;   in Loop: Header=BB2_186 Depth=2
	s_or_b32 exec_lo, exec_lo, s14
	v_add_nc_u32_e32 v28, 1, v28
	s_and_b32 s12, s12, exec_lo
                                        ; implicit-def: $vgpr24_vgpr25
                                        ; implicit-def: $vgpr55
	s_andn2_saveexec_b32 s13, s13
	s_cbranch_execz .LBB2_188
.LBB2_192:                              ;   in Loop: Header=BB2_186 Depth=2
	ds_read_b64 v[26:27], v29 offset:80
	s_mov_b32 s18, s12
	s_mov_b32 s14, exec_lo
                                        ; implicit-def: $vgpr22_vgpr23
	s_waitcnt lgkmcnt(0)
	v_cmpx_le_f64_e32 0, v[26:27]
	s_cbranch_execz .LBB2_194
; %bb.193:                              ;   in Loop: Header=BB2_186 Depth=2
	v_add_f64 v[22:23], v[26:27], -v[24:25]
	v_add_f64 v[24:25], -v[24:25], 0
	v_lshl_add_u32 v62, v28, 3, v69
	v_mov_b32_e32 v54, v53
	s_or_b32 s18, s12, exec_lo
	ds_write_b64 v62, v[53:54] offset:80
	v_div_scale_f64 v[26:27], null, v[22:23], v[22:23], v[24:25]
	v_div_scale_f64 v[60:61], vcc_lo, v[24:25], v[22:23], v[24:25]
	v_rcp_f64_e32 v[56:57], v[26:27]
	v_fma_f64 v[58:59], -v[26:27], v[56:57], 1.0
	v_fma_f64 v[56:57], v[56:57], v[58:59], v[56:57]
	v_fma_f64 v[58:59], -v[26:27], v[56:57], 1.0
	v_fma_f64 v[56:57], v[56:57], v[58:59], v[56:57]
	v_mul_f64 v[58:59], v[60:61], v[56:57]
	v_fma_f64 v[26:27], -v[26:27], v[58:59], v[60:61]
	ds_read_b64 v[60:61], v55
	v_div_fmas_f64 v[26:27], v[26:27], v[56:57], v[58:59]
	ds_read_b64 v[56:57], v29
	s_waitcnt lgkmcnt(0)
	v_add_f64 v[56:57], v[56:57], -v[60:61]
	v_div_fixup_f64 v[22:23], v[26:27], v[22:23], v[24:25]
	v_fma_f64 v[24:25], v[22:23], v[56:57], v[60:61]
	ds_write_b64 v62, v[24:25]
	ds_read_b64 v[24:25], v55 offset:160
	ds_read_b64 v[26:27], v29 offset:160
	s_waitcnt lgkmcnt(0)
	v_add_f64 v[26:27], v[26:27], -v[24:25]
	v_fma_f64 v[22:23], v[22:23], v[26:27], v[24:25]
.LBB2_194:                              ;   in Loop: Header=BB2_186 Depth=2
	s_or_b32 exec_lo, exec_lo, s14
	s_andn2_b32 s12, s12, exec_lo
	s_and_b32 s14, s18, exec_lo
	s_or_b32 s12, s12, s14
	s_or_b32 exec_lo, exec_lo, s13
	s_and_saveexec_b32 s13, s12
	s_cbranch_execz .LBB2_185
.LBB2_195:                              ;   in Loop: Header=BB2_186 Depth=2
	v_lshl_add_u32 v24, v28, 3, v69
	v_add_nc_u32_e32 v28, 1, v28
	ds_write_b64 v24, v[22:23] offset:160
	s_branch .LBB2_185
.LBB2_196:                              ;   in Loop: Header=BB2_127 Depth=1
	s_or_b32 exec_lo, exec_lo, s11
.LBB2_197:                              ;   in Loop: Header=BB2_127 Depth=1
	s_or_b32 exec_lo, exec_lo, s4
	v_mov_b32_e32 v18, 10
	v_mov_b32_e32 v19, 0
	s_mov_b32 s4, exec_lo
	v_cmpx_ne_u32_e32 0, v28
	s_cbranch_execz .LBB2_211
; %bb.198:                              ;   in Loop: Header=BB2_127 Depth=1
	v_add_nc_u32_e32 v18, -1, v28
	v_lshl_add_u32 v29, v28, 3, v87
	v_mov_b32_e32 v55, 9
	s_mov_b32 s11, 0
	v_mov_b32_e32 v22, 0
	v_ashrrev_i32_e32 v19, 31, v18
	v_add_co_u32 v20, vcc_lo, v18, 1
	v_mov_b32_e32 v23, 0
	v_add_co_ci_u32_e64 v21, null, 0, v19, vcc_lo
	s_branch .LBB2_200
.LBB2_199:                              ;   in Loop: Header=BB2_200 Depth=2
	s_or_b32 exec_lo, exec_lo, s13
	v_add_co_u32 v20, vcc_lo, v20, -1
	v_add_co_ci_u32_e64 v21, null, -1, v21, vcc_lo
	v_add_co_u32 v24, vcc_lo, v18, -1
	v_add_co_ci_u32_e64 v25, null, -1, v19, vcc_lo
	v_cmp_eq_u64_e32 vcc_lo, 0, v[20:21]
	v_mov_b32_e32 v23, v19
	v_mov_b32_e32 v22, v18
	;; [unrolled: 1-line block ×3, first 2 shown]
	v_add_nc_u32_e32 v29, -8, v29
	v_mov_b32_e32 v55, v27
	v_mov_b32_e32 v19, v25
	s_or_b32 s11, vcc_lo, s11
	s_andn2_b32 exec_lo, exec_lo, s11
	s_cbranch_execz .LBB2_210
.LBB2_200:                              ;   Parent Loop BB2_127 Depth=1
                                        ; =>  This Inner Loop Header: Depth=2
	v_lshl_add_u32 v56, v22, 3, v69
	v_add_nc_u32_e32 v54, 0xffffff60, v29
	s_mov_b32 s12, 0
	s_mov_b32 s13, exec_lo
                                        ; implicit-def: $vgpr23_vgpr24
	ds_read_b64 v[25:26], v56
	s_waitcnt lgkmcnt(0)
	v_cmpx_ngt_f64_e32 1.0, v[25:26]
	s_xor_b32 s13, exec_lo, s13
	s_cbranch_execz .LBB2_204
; %bb.201:                              ;   in Loop: Header=BB2_200 Depth=2
	ds_read_b64 v[27:28], v54
	s_mov_b32 s14, exec_lo
                                        ; implicit-def: $vgpr23_vgpr24
	s_waitcnt lgkmcnt(0)
	v_cmpx_gt_f64_e32 1.0, v[27:28]
	s_xor_b32 s14, exec_lo, s14
	s_cbranch_execz .LBB2_203
; %bb.202:                              ;   in Loop: Header=BB2_200 Depth=2
	v_add_f64 v[23:24], v[25:26], -v[27:28]
	v_add_f64 v[25:26], -v[27:28], 1.0
	v_mov_b32_e32 v54, v93
	s_mov_b32 s12, exec_lo
	v_div_scale_f64 v[27:28], null, v[23:24], v[23:24], v[25:26]
	v_div_scale_f64 v[61:62], vcc_lo, v[25:26], v[23:24], v[25:26]
	v_rcp_f64_e32 v[57:58], v[27:28]
	v_fma_f64 v[59:60], -v[27:28], v[57:58], 1.0
	v_fma_f64 v[57:58], v[57:58], v[59:60], v[57:58]
	v_fma_f64 v[59:60], -v[27:28], v[57:58], 1.0
	v_fma_f64 v[57:58], v[57:58], v[59:60], v[57:58]
	v_mul_f64 v[59:60], v[61:62], v[57:58]
	v_fma_f64 v[27:28], -v[27:28], v[59:60], v[61:62]
	v_lshl_add_u32 v61, v55, 3, v69
	v_add_nc_u32_e32 v62, 0xffffffb0, v29
	ds_write_b64 v61, v[53:54]
	v_div_fmas_f64 v[27:28], v[27:28], v[57:58], v[59:60]
	ds_read_b64 v[57:58], v62
	ds_read_b64 v[59:60], v56 offset:80
	v_div_fixup_f64 v[23:24], v[27:28], v[23:24], v[25:26]
	s_waitcnt lgkmcnt(0)
	v_add_f64 v[25:26], v[59:60], -v[57:58]
	v_fma_f64 v[25:26], v[23:24], v[25:26], v[57:58]
	ds_write_b64 v61, v[25:26] offset:80
.LBB2_203:                              ;   in Loop: Header=BB2_200 Depth=2
	s_or_b32 exec_lo, exec_lo, s14
	s_and_b32 s12, s12, exec_lo
                                        ; implicit-def: $vgpr56
                                        ; implicit-def: $vgpr25_vgpr26
                                        ; implicit-def: $vgpr54
.LBB2_204:                              ;   in Loop: Header=BB2_200 Depth=2
	s_or_saveexec_b32 s13, s13
	v_mov_b32_e32 v28, -1
	v_mov_b32_e32 v27, v55
	v_mov_b32_e32 v57, v29
	s_xor_b32 exec_lo, exec_lo, s13
	s_cbranch_execz .LBB2_208
; %bb.205:                              ;   in Loop: Header=BB2_200 Depth=2
	v_lshl_add_u32 v27, v55, 3, v69
	s_mov_b32 s18, s12
	s_mov_b32 s14, exec_lo
	ds_write_b64 v27, v[25:26]
	ds_read_b64 v[22:23], v56 offset:80
	s_waitcnt lgkmcnt(0)
	ds_write_b64 v27, v[22:23] offset:80
	ds_read_b64 v[22:23], v56 offset:160
	s_waitcnt lgkmcnt(0)
	ds_write_b64 v27, v[22:23] offset:160
	ds_read_b64 v[25:26], v54
                                        ; implicit-def: $vgpr23_vgpr24
                                        ; implicit-def: $vgpr22
	s_waitcnt lgkmcnt(0)
	v_cmpx_le_f64_e32 1.0, v[25:26]
	s_cbranch_execz .LBB2_207
; %bb.206:                              ;   in Loop: Header=BB2_200 Depth=2
	ds_read_b64 v[22:23], v56
	v_mov_b32_e32 v54, v93
	v_add_nc_u32_e32 v28, 0xffffffb0, v29
	s_or_b32 s18, s12, exec_lo
	s_waitcnt lgkmcnt(0)
	v_add_f64 v[24:25], v[25:26], -v[22:23]
	v_add_f64 v[22:23], -v[22:23], 1.0
	v_add_nc_u32_e32 v26, -8, v27
	ds_write_b64 v26, v[53:54]
	v_div_scale_f64 v[57:58], null, v[24:25], v[24:25], v[22:23]
	v_div_scale_f64 v[63:64], vcc_lo, v[22:23], v[24:25], v[22:23]
	v_rcp_f64_e32 v[59:60], v[57:58]
	v_fma_f64 v[61:62], -v[57:58], v[59:60], 1.0
	v_fma_f64 v[59:60], v[59:60], v[61:62], v[59:60]
	v_fma_f64 v[61:62], -v[57:58], v[59:60], 1.0
	v_fma_f64 v[59:60], v[59:60], v[61:62], v[59:60]
	v_mul_f64 v[61:62], v[63:64], v[59:60]
	v_fma_f64 v[57:58], -v[57:58], v[61:62], v[63:64]
	v_div_fmas_f64 v[57:58], v[57:58], v[59:60], v[61:62]
	ds_read_b64 v[59:60], v56 offset:80
	ds_read_b64 v[61:62], v28
	v_div_fixup_f64 v[23:24], v[57:58], v[24:25], v[22:23]
	s_waitcnt lgkmcnt(0)
	v_add_f64 v[25:26], v[61:62], -v[59:60]
	v_mov_b32_e32 v22, v18
	v_fma_f64 v[25:26], v[23:24], v[25:26], v[59:60]
	ds_write_b64 v27, v[25:26] offset:72
.LBB2_207:                              ;   in Loop: Header=BB2_200 Depth=2
	s_or_b32 exec_lo, exec_lo, s14
	v_add_nc_u32_e32 v57, 0xa0, v56
	v_add_nc_u32_e32 v27, -1, v55
	v_mov_b32_e32 v28, -2
	s_andn2_b32 s12, s12, exec_lo
	s_and_b32 s14, s18, exec_lo
	s_or_b32 s12, s12, s14
.LBB2_208:                              ;   in Loop: Header=BB2_200 Depth=2
	s_or_b32 exec_lo, exec_lo, s13
	s_and_saveexec_b32 s13, s12
	s_cbranch_execz .LBB2_199
; %bb.209:                              ;   in Loop: Header=BB2_200 Depth=2
	v_lshl_add_u32 v22, v22, 3, v69
	ds_read_b64 v[25:26], v57
	ds_read_b64 v[56:57], v22 offset:160
	s_waitcnt lgkmcnt(0)
	v_add_f64 v[56:57], v[56:57], -v[25:26]
	v_fma_f64 v[22:23], v[23:24], v[56:57], v[25:26]
	v_lshl_add_u32 v24, v27, 3, v69
	v_add_nc_u32_e32 v27, v28, v55
	ds_write_b64 v24, v[22:23] offset:160
	s_branch .LBB2_199
.LBB2_210:                              ;   in Loop: Header=BB2_127 Depth=1
	s_or_b32 exec_lo, exec_lo, s11
	v_add_nc_u32_e32 v18, 1, v27
	v_ashrrev_i32_e32 v19, 31, v18
.LBB2_211:                              ;   in Loop: Header=BB2_127 Depth=1
	s_or_b32 exec_lo, exec_lo, s4
	v_mov_b32_e32 v55, 0
	s_mov_b32 s4, exec_lo
	v_cmpx_ne_u64_e32 10, v[18:19]
	s_cbranch_execz .LBB2_225
; %bb.212:                              ;   in Loop: Header=BB2_127 Depth=1
	v_add_co_u32 v20, vcc_lo, v18, -10
	v_lshl_add_u32 v28, v18, 3, v69
	v_add_co_ci_u32_e64 v21, null, -1, v19, vcc_lo
	v_mov_b32_e32 v55, 0
	s_mov_b32 s11, 0
	v_mov_b32_e32 v22, 9
	v_mov_b32_e32 v23, 0
	s_branch .LBB2_214
.LBB2_213:                              ;   in Loop: Header=BB2_214 Depth=2
	s_or_b32 exec_lo, exec_lo, s13
	v_add_co_u32 v20, vcc_lo, v20, 1
	v_add_co_ci_u32_e64 v21, null, 0, v21, vcc_lo
	v_add_co_u32 v24, vcc_lo, v18, 1
	v_add_co_ci_u32_e64 v25, null, 0, v19, vcc_lo
	v_cmp_eq_u64_e32 vcc_lo, 0, v[20:21]
	v_mov_b32_e32 v23, v19
	v_mov_b32_e32 v22, v18
	;; [unrolled: 1-line block ×3, first 2 shown]
	v_add_nc_u32_e32 v28, 8, v28
	v_mov_b32_e32 v19, v25
	s_or_b32 s11, vcc_lo, s11
	s_andn2_b32 exec_lo, exec_lo, s11
	s_cbranch_execz .LBB2_224
.LBB2_214:                              ;   Parent Loop BB2_127 Depth=1
                                        ; =>  This Inner Loop Header: Depth=2
	v_lshl_add_u32 v29, v22, 3, v69
	s_mov_b32 s12, 0
	s_mov_b32 s13, exec_lo
                                        ; implicit-def: $vgpr22_vgpr23
	ds_read_b64 v[24:25], v29
	s_waitcnt lgkmcnt(0)
	v_cmpx_le_f64_e32 0, v[24:25]
	s_xor_b32 s13, exec_lo, s13
	s_cbranch_execnz .LBB2_217
; %bb.215:                              ;   in Loop: Header=BB2_214 Depth=2
	s_andn2_saveexec_b32 s13, s13
	s_cbranch_execnz .LBB2_220
.LBB2_216:                              ;   in Loop: Header=BB2_214 Depth=2
	s_or_b32 exec_lo, exec_lo, s13
	s_and_saveexec_b32 s13, s12
	s_cbranch_execz .LBB2_213
	s_branch .LBB2_223
.LBB2_217:                              ;   in Loop: Header=BB2_214 Depth=2
	v_lshl_add_u32 v26, v55, 3, v69
	s_mov_b32 s14, exec_lo
	ds_write_b64 v26, v[24:25]
	ds_read_b64 v[22:23], v29 offset:80
	s_waitcnt lgkmcnt(0)
	ds_write_b64 v26, v[22:23] offset:80
	ds_read_b64 v[22:23], v29 offset:160
	s_waitcnt lgkmcnt(0)
	ds_write_b64 v26, v[22:23] offset:160
	ds_read_b64 v[24:25], v28
                                        ; implicit-def: $vgpr22_vgpr23
	s_waitcnt lgkmcnt(0)
	v_cmpx_gt_f64_e32 0, v[24:25]
	s_cbranch_execz .LBB2_219
; %bb.218:                              ;   in Loop: Header=BB2_214 Depth=2
	ds_read_b64 v[22:23], v29
	v_add_f64 v[56:57], -v[24:25], 0
	v_mov_b32_e32 v54, v53
	s_mov_b32 s12, exec_lo
	ds_write_b64 v26, v[53:54] offset:8
	s_waitcnt lgkmcnt(1)
	v_add_f64 v[22:23], v[22:23], -v[24:25]
	v_div_scale_f64 v[24:25], null, v[22:23], v[22:23], v[56:57]
	v_div_scale_f64 v[62:63], vcc_lo, v[56:57], v[22:23], v[56:57]
	v_rcp_f64_e32 v[58:59], v[24:25]
	v_fma_f64 v[60:61], -v[24:25], v[58:59], 1.0
	v_fma_f64 v[58:59], v[58:59], v[60:61], v[58:59]
	v_fma_f64 v[60:61], -v[24:25], v[58:59], 1.0
	v_fma_f64 v[58:59], v[58:59], v[60:61], v[58:59]
	v_mul_f64 v[60:61], v[62:63], v[58:59]
	v_fma_f64 v[24:25], -v[24:25], v[60:61], v[62:63]
	ds_read_b64 v[62:63], v28 offset:80
	v_div_fmas_f64 v[24:25], v[24:25], v[58:59], v[60:61]
	ds_read_b64 v[58:59], v29 offset:80
	s_waitcnt lgkmcnt(0)
	v_add_f64 v[58:59], v[58:59], -v[62:63]
	v_div_fixup_f64 v[22:23], v[24:25], v[22:23], v[56:57]
	v_fma_f64 v[24:25], v[22:23], v[58:59], v[62:63]
	ds_write_b64 v26, v[24:25] offset:88
	ds_read_b64 v[24:25], v28 offset:160
	ds_read_b64 v[26:27], v29 offset:160
	s_waitcnt lgkmcnt(0)
	v_add_f64 v[26:27], v[26:27], -v[24:25]
	v_fma_f64 v[22:23], v[22:23], v[26:27], v[24:25]
.LBB2_219:                              ;   in Loop: Header=BB2_214 Depth=2
	s_or_b32 exec_lo, exec_lo, s14
	v_add_nc_u32_e32 v55, 1, v55
	s_and_b32 s12, s12, exec_lo
                                        ; implicit-def: $vgpr24_vgpr25
                                        ; implicit-def: $vgpr29
	s_andn2_saveexec_b32 s13, s13
	s_cbranch_execz .LBB2_216
.LBB2_220:                              ;   in Loop: Header=BB2_214 Depth=2
	ds_read_b64 v[26:27], v28
	s_mov_b32 s18, s12
	s_mov_b32 s14, exec_lo
                                        ; implicit-def: $vgpr22_vgpr23
	s_waitcnt lgkmcnt(0)
	v_cmpx_le_f64_e32 0, v[26:27]
	s_cbranch_execz .LBB2_222
; %bb.221:                              ;   in Loop: Header=BB2_214 Depth=2
	v_add_f64 v[22:23], v[26:27], -v[24:25]
	v_add_f64 v[24:25], -v[24:25], 0
	v_lshl_add_u32 v62, v55, 3, v69
	v_mov_b32_e32 v54, v53
	s_or_b32 s18, s12, exec_lo
	ds_write_b64 v62, v[53:54]
	v_div_scale_f64 v[26:27], null, v[22:23], v[22:23], v[24:25]
	v_div_scale_f64 v[60:61], vcc_lo, v[24:25], v[22:23], v[24:25]
	v_rcp_f64_e32 v[56:57], v[26:27]
	v_fma_f64 v[58:59], -v[26:27], v[56:57], 1.0
	v_fma_f64 v[56:57], v[56:57], v[58:59], v[56:57]
	v_fma_f64 v[58:59], -v[26:27], v[56:57], 1.0
	v_fma_f64 v[56:57], v[56:57], v[58:59], v[56:57]
	v_mul_f64 v[58:59], v[60:61], v[56:57]
	v_fma_f64 v[26:27], -v[26:27], v[58:59], v[60:61]
	ds_read_b64 v[60:61], v29 offset:80
	v_div_fmas_f64 v[26:27], v[26:27], v[56:57], v[58:59]
	ds_read_b64 v[56:57], v28 offset:80
	s_waitcnt lgkmcnt(0)
	v_add_f64 v[56:57], v[56:57], -v[60:61]
	v_div_fixup_f64 v[22:23], v[26:27], v[22:23], v[24:25]
	v_fma_f64 v[24:25], v[22:23], v[56:57], v[60:61]
	ds_write_b64 v62, v[24:25] offset:80
	ds_read_b64 v[24:25], v29 offset:160
	ds_read_b64 v[26:27], v28 offset:160
	s_waitcnt lgkmcnt(0)
	v_add_f64 v[26:27], v[26:27], -v[24:25]
	v_fma_f64 v[22:23], v[22:23], v[26:27], v[24:25]
.LBB2_222:                              ;   in Loop: Header=BB2_214 Depth=2
	s_or_b32 exec_lo, exec_lo, s14
	s_andn2_b32 s12, s12, exec_lo
	s_and_b32 s14, s18, exec_lo
	s_or_b32 s12, s12, s14
	s_or_b32 exec_lo, exec_lo, s13
	s_and_saveexec_b32 s13, s12
	s_cbranch_execz .LBB2_213
.LBB2_223:                              ;   in Loop: Header=BB2_214 Depth=2
	v_lshl_add_u32 v24, v55, 3, v69
	v_add_nc_u32_e32 v55, 1, v55
	ds_write_b64 v24, v[22:23] offset:160
	s_branch .LBB2_213
.LBB2_224:                              ;   in Loop: Header=BB2_127 Depth=1
	s_or_b32 exec_lo, exec_lo, s11
.LBB2_225:                              ;   in Loop: Header=BB2_127 Depth=1
	s_or_b32 exec_lo, exec_lo, s4
	v_ashrrev_i32_e32 v56, 31, v55
	v_cmp_lt_i32_e64 s4, 0, v55
	s_and_saveexec_b32 s11, s4
	s_cbranch_execz .LBB2_228
; %bb.226:                              ;   in Loop: Header=BB2_127 Depth=1
	v_mov_b32_e32 v18, v55
	v_mov_b32_e32 v20, v69
	;; [unrolled: 1-line block ×3, first 2 shown]
	s_mov_b32 s12, 16
	s_mov_b32 s13, 0
	.p2align	6
.LBB2_227:                              ;   Parent Loop BB2_127 Depth=1
                                        ; =>  This Inner Loop Header: Depth=2
	ds_read2_b64 v[21:24], v20 offset1:10
	ds_read_b64 v[25:26], v20 offset:160
	v_add_co_u32 v18, vcc_lo, v18, -1
	v_add_co_ci_u32_e64 v19, null, -1, v19, vcc_lo
	v_mov_b32_e32 v27, s12
	v_add_nc_u32_e32 v20, 8, v20
	s_add_i32 s12, s12, 8
	v_cmp_eq_u64_e32 vcc_lo, 0, v[18:19]
	s_waitcnt lgkmcnt(1)
	buffer_store_dword v22, v27, s[0:3], 0 offen offset:4
	buffer_store_dword v21, v27, s[0:3], 0 offen
	buffer_store_dword v24, v27, s[0:3], 0 offen offset:68
	buffer_store_dword v23, v27, s[0:3], 0 offen offset:64
	s_waitcnt lgkmcnt(0)
	buffer_store_dword v26, v27, s[0:3], 0 offen offset:132
	buffer_store_dword v25, v27, s[0:3], 0 offen offset:128
	s_or_b32 s13, vcc_lo, s13
	s_andn2_b32 exec_lo, exec_lo, s13
	s_cbranch_execnz .LBB2_227
.LBB2_228:                              ;   in Loop: Header=BB2_127 Depth=1
	s_or_b32 exec_lo, exec_lo, s11
	v_sub_co_u32 v57, s11, v55, 1
	v_mov_b32_e32 v28, 9
	v_lshl_add_u32 v54, v55, 3, v88
	s_xor_b32 s11, s11, -1
	v_ashrrev_i32_e32 v58, 31, v57
	s_and_saveexec_b32 s12, s11
	s_cbranch_execz .LBB2_242
; %bb.229:                              ;   in Loop: Header=BB2_127 Depth=1
	v_add_co_u32 v18, vcc_lo, v57, 1
	v_mov_b32_e32 v20, v57
	v_lshl_add_u32 v29, v55, 3, v88
	v_add_co_ci_u32_e64 v19, null, 0, v58, vcc_lo
	v_mov_b32_e32 v28, 9
	v_mov_b32_e32 v21, v58
	s_mov_b32 s13, 0
	v_mov_b32_e32 v22, 0
	v_mov_b32_e32 v23, 0
	s_branch .LBB2_231
.LBB2_230:                              ;   in Loop: Header=BB2_231 Depth=2
	s_or_b32 exec_lo, exec_lo, s18
	v_add_co_u32 v18, vcc_lo, v18, -1
	v_add_co_ci_u32_e64 v19, null, -1, v19, vcc_lo
	v_add_co_u32 v24, vcc_lo, v20, -1
	v_add_co_ci_u32_e64 v25, null, -1, v21, vcc_lo
	v_cmp_eq_u64_e32 vcc_lo, 0, v[18:19]
	v_mov_b32_e32 v23, v21
	v_mov_b32_e32 v22, v20
	v_mov_b32_e32 v20, v24
	v_add_nc_u32_e32 v29, -8, v29
	v_mov_b32_e32 v21, v25
	s_or_b32 s13, vcc_lo, s13
	s_andn2_b32 exec_lo, exec_lo, s13
	s_cbranch_execz .LBB2_241
.LBB2_231:                              ;   Parent Loop BB2_127 Depth=1
                                        ; =>  This Inner Loop Header: Depth=2
	v_lshl_add_u32 v59, v22, 3, v69
	s_mov_b32 s14, 0
	s_mov_b32 s18, exec_lo
                                        ; implicit-def: $vgpr22_vgpr23
	ds_read_b64 v[24:25], v59 offset:160
	s_waitcnt lgkmcnt(0)
	v_cmpx_ge_f64_e32 v[24:25], v[34:35]
	s_xor_b32 s18, exec_lo, s18
	s_cbranch_execnz .LBB2_234
; %bb.232:                              ;   in Loop: Header=BB2_231 Depth=2
	s_andn2_saveexec_b32 s18, s18
	s_cbranch_execnz .LBB2_237
.LBB2_233:                              ;   in Loop: Header=BB2_231 Depth=2
	s_or_b32 exec_lo, exec_lo, s18
	s_and_saveexec_b32 s18, s14
	s_cbranch_execz .LBB2_230
	s_branch .LBB2_240
.LBB2_234:                              ;   in Loop: Header=BB2_231 Depth=2
	v_lshl_add_u32 v26, v28, 3, v69
	s_mov_b32 s19, exec_lo
	ds_write_b64 v26, v[24:25] offset:160
	ds_read_b64 v[22:23], v59
	s_waitcnt lgkmcnt(0)
	ds_write_b64 v26, v[22:23]
	ds_read_b64 v[22:23], v59 offset:80
	s_waitcnt lgkmcnt(0)
	ds_write_b64 v26, v[22:23] offset:80
	ds_read_b64 v[24:25], v29 offset:160
                                        ; implicit-def: $vgpr22_vgpr23
	s_waitcnt lgkmcnt(0)
	v_cmpx_lt_f64_e32 v[24:25], v[34:35]
	s_cbranch_execz .LBB2_236
; %bb.235:                              ;   in Loop: Header=BB2_231 Depth=2
	ds_read_b64 v[22:23], v59 offset:160
	v_add_f64 v[60:61], v[34:35], -v[24:25]
	ds_write_b64 v26, v[34:35] offset:152
	v_add_nc_u32_e32 v26, -8, v26
	s_mov_b32 s14, exec_lo
	s_waitcnt lgkmcnt(1)
	v_add_f64 v[22:23], v[22:23], -v[24:25]
	v_div_scale_f64 v[24:25], null, v[22:23], v[22:23], v[60:61]
	v_div_scale_f64 v[66:67], vcc_lo, v[60:61], v[22:23], v[60:61]
	v_rcp_f64_e32 v[62:63], v[24:25]
	v_fma_f64 v[64:65], -v[24:25], v[62:63], 1.0
	v_fma_f64 v[62:63], v[62:63], v[64:65], v[62:63]
	v_fma_f64 v[64:65], -v[24:25], v[62:63], 1.0
	v_fma_f64 v[62:63], v[62:63], v[64:65], v[62:63]
	v_mul_f64 v[64:65], v[66:67], v[62:63]
	v_fma_f64 v[24:25], -v[24:25], v[64:65], v[66:67]
	ds_read_b64 v[66:67], v29
	v_div_fmas_f64 v[24:25], v[24:25], v[62:63], v[64:65]
	ds_read_b64 v[62:63], v59
	s_waitcnt lgkmcnt(0)
	v_add_f64 v[62:63], v[62:63], -v[66:67]
	v_div_fixup_f64 v[22:23], v[24:25], v[22:23], v[60:61]
	v_fma_f64 v[24:25], v[22:23], v[62:63], v[66:67]
	ds_write_b64 v26, v[24:25]
	ds_read_b64 v[24:25], v29 offset:80
	ds_read_b64 v[26:27], v59 offset:80
	s_waitcnt lgkmcnt(0)
	v_add_f64 v[26:27], v[26:27], -v[24:25]
	v_fma_f64 v[22:23], v[22:23], v[26:27], v[24:25]
.LBB2_236:                              ;   in Loop: Header=BB2_231 Depth=2
	s_or_b32 exec_lo, exec_lo, s19
	v_add_nc_u32_e32 v28, -1, v28
	s_and_b32 s14, s14, exec_lo
                                        ; implicit-def: $vgpr24_vgpr25
                                        ; implicit-def: $vgpr59
	s_andn2_saveexec_b32 s18, s18
	s_cbranch_execz .LBB2_233
.LBB2_237:                              ;   in Loop: Header=BB2_231 Depth=2
	ds_read_b64 v[26:27], v29 offset:160
	s_mov_b32 s26, s14
	s_mov_b32 s19, exec_lo
                                        ; implicit-def: $vgpr22_vgpr23
	s_waitcnt lgkmcnt(0)
	v_cmpx_ge_f64_e32 v[26:27], v[34:35]
	s_cbranch_execz .LBB2_239
; %bb.238:                              ;   in Loop: Header=BB2_231 Depth=2
	v_add_f64 v[22:23], v[26:27], -v[24:25]
	v_add_f64 v[24:25], v[34:35], -v[24:25]
	v_lshl_add_u32 v66, v28, 3, v69
	s_or_b32 s26, s14, exec_lo
	ds_write_b64 v66, v[34:35] offset:160
	v_div_scale_f64 v[26:27], null, v[22:23], v[22:23], v[24:25]
	v_div_scale_f64 v[64:65], vcc_lo, v[24:25], v[22:23], v[24:25]
	v_rcp_f64_e32 v[60:61], v[26:27]
	v_fma_f64 v[62:63], -v[26:27], v[60:61], 1.0
	v_fma_f64 v[60:61], v[60:61], v[62:63], v[60:61]
	v_fma_f64 v[62:63], -v[26:27], v[60:61], 1.0
	v_fma_f64 v[60:61], v[60:61], v[62:63], v[60:61]
	v_mul_f64 v[62:63], v[64:65], v[60:61]
	v_fma_f64 v[26:27], -v[26:27], v[62:63], v[64:65]
	ds_read_b64 v[64:65], v59
	v_div_fmas_f64 v[26:27], v[26:27], v[60:61], v[62:63]
	ds_read_b64 v[60:61], v29
	s_waitcnt lgkmcnt(0)
	v_add_f64 v[60:61], v[60:61], -v[64:65]
	v_div_fixup_f64 v[22:23], v[26:27], v[22:23], v[24:25]
	v_fma_f64 v[24:25], v[22:23], v[60:61], v[64:65]
	ds_write_b64 v66, v[24:25]
	ds_read_b64 v[24:25], v59 offset:80
	ds_read_b64 v[26:27], v29 offset:80
	s_waitcnt lgkmcnt(0)
	v_add_f64 v[26:27], v[26:27], -v[24:25]
	v_fma_f64 v[22:23], v[22:23], v[26:27], v[24:25]
.LBB2_239:                              ;   in Loop: Header=BB2_231 Depth=2
	s_or_b32 exec_lo, exec_lo, s19
	s_andn2_b32 s14, s14, exec_lo
	s_and_b32 s19, s26, exec_lo
	s_or_b32 s14, s14, s19
	s_or_b32 exec_lo, exec_lo, s18
	s_and_saveexec_b32 s18, s14
	s_cbranch_execz .LBB2_230
.LBB2_240:                              ;   in Loop: Header=BB2_231 Depth=2
	v_lshl_add_u32 v24, v28, 3, v69
	v_add_nc_u32_e32 v28, -1, v28
	ds_write_b64 v24, v[22:23] offset:80
	s_branch .LBB2_230
.LBB2_241:                              ;   in Loop: Header=BB2_127 Depth=1
	s_or_b32 exec_lo, exec_lo, s13
.LBB2_242:                              ;   in Loop: Header=BB2_127 Depth=1
	s_or_b32 exec_lo, exec_lo, s12
	s_mov_b32 s12, exec_lo
	v_cmpx_gt_i32_e32 7, v28
	s_cbranch_execz .LBB2_248
; %bb.243:                              ;   in Loop: Header=BB2_127 Depth=1
	v_sub_nc_u32_e32 v59, 9, v28
	v_lshlrev_b32_e32 v94, 3, v28
	v_mov_b32_e32 v60, v53
	s_mov_b32 s13, 0
	v_mov_b32_e32 v18, v59
	v_add_nc_u32_e32 v20, v89, v94
	v_mov_b32_e32 v19, v60
.LBB2_244:                              ;   Parent Loop BB2_127 Depth=1
                                        ; =>  This Inner Loop Header: Depth=2
	v_add_co_u32 v18, vcc_lo, v18, -1
	v_add_co_ci_u32_e64 v19, null, -1, v19, vcc_lo
	ds_write_b64 v20, v[34:35]
	v_add_nc_u32_e32 v20, 8, v20
	v_cmp_eq_u64_e32 vcc_lo, 0, v[18:19]
	s_or_b32 s13, vcc_lo, s13
	s_andn2_b32 exec_lo, exec_lo, s13
	s_cbranch_execnz .LBB2_244
; %bb.245:                              ;   in Loop: Header=BB2_127 Depth=1
	s_or_b32 exec_lo, exec_lo, s13
	v_lshl_add_u32 v26, v28, 3, v69
	v_add_co_u32 v59, s13, v59, -2
	v_mov_b32_e32 v61, 0
	v_mov_b32_e32 v63, 0
	ds_read2_b64 v[18:21], v26 offset0:1 offset1:2
	ds_read2_b64 v[22:25], v26 offset0:11 offset1:12
	;; [unrolled: 1-line block ×3, first 2 shown]
	v_mov_b32_e32 v65, 0
	v_mov_b32_e32 v67, 0
	v_add_co_ci_u32_e64 v60, null, 0, -1, s13
	v_mov_b32_e32 v62, 0
	v_mov_b32_e32 v64, 0
	;; [unrolled: 1-line block ×4, first 2 shown]
	v_add_nc_u32_e32 v94, v90, v94
	s_mov_b32 s13, 0
.LBB2_246:                              ;   Parent Loop BB2_127 Depth=1
                                        ; =>  This Inner Loop Header: Depth=2
	ds_read2_b64 v[95:98], v94 offset1:10
	s_waitcnt lgkmcnt(1)
	v_add_f64 v[99:100], v[26:27], v[28:29]
	ds_read_b64 v[105:106], v94 offset:160
	v_add_f64 v[107:108], v[18:19], v[20:21]
	v_add_f64 v[109:110], v[18:19], -v[20:21]
	v_add_co_u32 v59, vcc_lo, v59, -1
	v_add_co_ci_u32_e64 v60, null, -1, v60, vcc_lo
	v_add_nc_u32_e32 v94, 8, v94
	v_cmp_eq_u64_e32 vcc_lo, 0, v[59:60]
	s_or_b32 s13, vcc_lo, s13
	s_waitcnt lgkmcnt(1)
	v_add_f64 v[101:102], v[24:25], v[97:98]
	v_add_f64 v[103:104], v[20:21], -v[95:96]
	v_add_f64 v[24:25], v[22:23], v[24:25]
	s_waitcnt lgkmcnt(0)
	v_add_f64 v[28:29], v[28:29], v[105:106]
	v_mul_f64 v[111:112], v[99:100], 0.5
	v_add_f64 v[20:21], v[20:21], v[95:96]
	v_add_f64 v[113:114], v[26:27], v[105:106]
	;; [unrolled: 1-line block ×3, first 2 shown]
	v_add_f64 v[117:118], v[95:96], -v[18:19]
	v_fma_f64 v[107:108], v[36:37], v[107:108], v[0:1]
	v_fma_f64 v[99:100], v[99:100], 0.5, 0
	v_mul_f64 v[103:104], v[103:104], v[101:102]
	v_fma_f64 v[119:120], v[38:39], v[24:25], v[4:5]
	v_mul_f64 v[121:122], v[28:29], 0.5
	v_fma_f64 v[123:124], v[111:112], 0.5, v[8:9]
	v_fma_f64 v[20:21], v[36:37], v[20:21], v[0:1]
	v_fma_f64 v[101:102], v[38:39], v[101:102], v[4:5]
	;; [unrolled: 1-line block ×3, first 2 shown]
	v_fma_f64 v[28:29], v[28:29], 0.5, v[99:100]
	v_fma_f64 v[24:25], v[109:110], v[24:25], v[103:104]
	v_add_f64 v[103:104], v[18:19], v[95:96]
	v_mul_f64 v[109:110], v[113:114], 0.5
	v_fma_f64 v[119:120], v[111:112], v[119:120], 0
	v_fma_f64 v[125:126], v[121:122], 0.5, v[8:9]
	v_fma_f64 v[111:112], v[111:112], v[123:124], 0
	v_fma_f64 v[20:21], v[20:21], v[121:122], v[107:108]
	v_fma_f64 v[28:29], v[113:114], 0.5, v[28:29]
	v_fma_f64 v[24:25], v[117:118], v[115:116], v[24:25]
	v_fma_f64 v[103:104], v[36:37], v[103:104], v[0:1]
	;; [unrolled: 1-line block ×3, first 2 shown]
	v_fma_f64 v[99:100], v[109:110], 0.5, v[8:9]
	v_fma_f64 v[101:102], v[121:122], v[101:102], v[119:120]
	v_fma_f64 v[107:108], v[121:122], v[125:126], v[111:112]
	v_mul_f64 v[24:25], v[24:25], 0.5
	v_fma_f64 v[20:21], v[103:104], v[109:110], v[20:21]
	v_fma_f64 v[101:102], v[109:110], v[115:116], v[101:102]
	;; [unrolled: 1-line block ×3, first 2 shown]
	v_mul_f64 v[24:25], v[24:25], s[8:9]
	v_fma_f64 v[61:62], v[28:29], v[24:25], v[61:62]
	v_fma_f64 v[63:64], v[24:25], v[20:21], v[63:64]
	;; [unrolled: 1-line block ×4, first 2 shown]
	v_mov_b32_e32 v20, v95
	v_mov_b32_e32 v24, v97
	;; [unrolled: 1-line block ×6, first 2 shown]
	s_andn2_b32 exec_lo, exec_lo, s13
	s_cbranch_execnz .LBB2_246
; %bb.247:                              ;   in Loop: Header=BB2_127 Depth=1
	s_or_b32 exec_lo, exec_lo, s13
	v_fma_f64 v[14:15], v[2:3], v[61:62], v[14:15]
	v_fma_f64 v[16:17], v[2:3], v[63:64], v[16:17]
	v_fma_f64 v[10:11], v[2:3], v[65:66], v[10:11]
	v_fma_f64 v[12:13], v[2:3], v[67:68], v[12:13]
.LBB2_248:                              ;   in Loop: Header=BB2_127 Depth=1
	s_or_b32 exec_lo, exec_lo, s12
	s_and_saveexec_b32 s12, s4
	s_cbranch_execz .LBB2_251
; %bb.249:                              ;   in Loop: Header=BB2_127 Depth=1
	v_mov_b32_e32 v18, v69
	s_mov_b32 s4, 16
	s_mov_b32 s13, 0
	.p2align	6
.LBB2_250:                              ;   Parent Loop BB2_127 Depth=1
                                        ; =>  This Inner Loop Header: Depth=2
	v_mov_b32_e32 v24, s4
	v_add_co_u32 v55, vcc_lo, v55, -1
	v_add_co_ci_u32_e64 v56, null, -1, v56, vcc_lo
	s_clause 0x5
	buffer_load_dword v19, v24, s[0:3], 0 offen
	buffer_load_dword v20, v24, s[0:3], 0 offen offset:4
	buffer_load_dword v22, v24, s[0:3], 0 offen offset:68
	;; [unrolled: 1-line block ×5, first 2 shown]
	s_add_i32 s4, s4, 8
	s_waitcnt vmcnt(1)
	ds_write2_b64 v18, v[19:20], v[21:22] offset1:10
	s_waitcnt vmcnt(0)
	ds_write_b64 v18, v[23:24] offset:160
	v_cmp_eq_u64_e32 vcc_lo, 0, v[55:56]
	v_add_nc_u32_e32 v18, 8, v18
	s_or_b32 s13, vcc_lo, s13
	s_andn2_b32 exec_lo, exec_lo, s13
	s_cbranch_execnz .LBB2_250
.LBB2_251:                              ;   in Loop: Header=BB2_127 Depth=1
	s_or_b32 exec_lo, exec_lo, s12
	v_mov_b32_e32 v18, 10
	v_mov_b32_e32 v19, 0
	s_and_saveexec_b32 s4, s11
	s_cbranch_execz .LBB2_265
; %bb.252:                              ;   in Loop: Header=BB2_127 Depth=1
	v_add_co_u32 v18, vcc_lo, v57, 1
	v_add_co_ci_u32_e64 v19, null, 0, v58, vcc_lo
	v_mov_b32_e32 v27, 9
	s_mov_b32 s11, 0
	v_mov_b32_e32 v20, 0
	v_mov_b32_e32 v21, 0
	s_branch .LBB2_254
.LBB2_253:                              ;   in Loop: Header=BB2_254 Depth=2
	s_or_b32 exec_lo, exec_lo, s13
	v_add_co_u32 v18, vcc_lo, v18, -1
	v_add_co_ci_u32_e64 v19, null, -1, v19, vcc_lo
	v_add_co_u32 v22, vcc_lo, v57, -1
	v_add_co_ci_u32_e64 v23, null, -1, v58, vcc_lo
	v_cmp_eq_u64_e32 vcc_lo, 0, v[18:19]
	v_mov_b32_e32 v20, v57
	v_mov_b32_e32 v21, v58
	;; [unrolled: 1-line block ×3, first 2 shown]
	v_add_nc_u32_e32 v54, -8, v54
	v_mov_b32_e32 v27, v25
	v_mov_b32_e32 v57, v22
	s_or_b32 s11, vcc_lo, s11
	s_andn2_b32 exec_lo, exec_lo, s11
	s_cbranch_execz .LBB2_264
.LBB2_254:                              ;   Parent Loop BB2_127 Depth=1
                                        ; =>  This Inner Loop Header: Depth=2
	v_lshl_add_u32 v28, v20, 3, v69
	s_mov_b32 s12, 0
	s_mov_b32 s13, exec_lo
                                        ; implicit-def: $vgpr21_vgpr22
                                        ; implicit-def: $vgpr29
	ds_read_b64 v[23:24], v28 offset:160
	s_waitcnt lgkmcnt(0)
	v_cmpx_nlt_f64_e32 v[23:24], v[34:35]
	s_xor_b32 s13, exec_lo, s13
	s_cbranch_execz .LBB2_258
; %bb.255:                              ;   in Loop: Header=BB2_254 Depth=2
	ds_read_b64 v[25:26], v54 offset:160
	s_mov_b32 s14, exec_lo
                                        ; implicit-def: $vgpr21_vgpr22
                                        ; implicit-def: $vgpr29
	s_waitcnt lgkmcnt(0)
	v_cmpx_lt_f64_e32 v[25:26], v[34:35]
	s_xor_b32 s14, exec_lo, s14
	s_cbranch_execz .LBB2_257
; %bb.256:                              ;   in Loop: Header=BB2_254 Depth=2
	v_add_f64 v[21:22], v[23:24], -v[25:26]
	v_add_f64 v[23:24], v[34:35], -v[25:26]
	s_mov_b32 s12, exec_lo
	v_div_scale_f64 v[25:26], null, v[21:22], v[21:22], v[23:24]
	v_div_scale_f64 v[61:62], vcc_lo, v[23:24], v[21:22], v[23:24]
	v_rcp_f64_e32 v[55:56], v[25:26]
	v_fma_f64 v[59:60], -v[25:26], v[55:56], 1.0
	v_fma_f64 v[55:56], v[55:56], v[59:60], v[55:56]
	v_fma_f64 v[59:60], -v[25:26], v[55:56], 1.0
	v_fma_f64 v[55:56], v[55:56], v[59:60], v[55:56]
	v_mul_f64 v[59:60], v[61:62], v[55:56]
	v_fma_f64 v[25:26], -v[25:26], v[59:60], v[61:62]
	v_lshl_add_u32 v61, v27, 3, v69
	ds_write_b64 v61, v[34:35] offset:160
	v_div_fmas_f64 v[25:26], v[25:26], v[55:56], v[59:60]
	ds_read_b64 v[55:56], v54
	ds_read_b64 v[28:29], v28
	v_div_fixup_f64 v[21:22], v[25:26], v[21:22], v[23:24]
	s_waitcnt lgkmcnt(0)
	v_add_f64 v[23:24], v[28:29], -v[55:56]
	v_add_nc_u32_e32 v29, 0x50, v54
	v_fma_f64 v[23:24], v[21:22], v[23:24], v[55:56]
	ds_write_b64 v61, v[23:24]
.LBB2_257:                              ;   in Loop: Header=BB2_254 Depth=2
	s_or_b32 exec_lo, exec_lo, s14
	s_and_b32 s12, s12, exec_lo
                                        ; implicit-def: $vgpr28
                                        ; implicit-def: $vgpr23_vgpr24
.LBB2_258:                              ;   in Loop: Header=BB2_254 Depth=2
	s_or_saveexec_b32 s13, s13
	v_mov_b32_e32 v26, -1
	v_mov_b32_e32 v25, v27
	s_xor_b32 exec_lo, exec_lo, s13
	s_cbranch_execz .LBB2_262
; %bb.259:                              ;   in Loop: Header=BB2_254 Depth=2
	v_lshl_add_u32 v25, v27, 3, v69
	s_mov_b32 s18, s12
	s_mov_b32 s14, exec_lo
	ds_write_b64 v25, v[23:24] offset:160
	ds_read_b64 v[20:21], v28
	s_waitcnt lgkmcnt(0)
	ds_write_b64 v25, v[20:21]
	ds_read_b64 v[20:21], v28 offset:80
	s_waitcnt lgkmcnt(0)
	ds_write_b64 v25, v[20:21] offset:80
	ds_read_b64 v[23:24], v54 offset:160
                                        ; implicit-def: $vgpr21_vgpr22
                                        ; implicit-def: $vgpr20
	s_waitcnt lgkmcnt(0)
	v_cmpx_ge_f64_e32 v[23:24], v[34:35]
	s_cbranch_execz .LBB2_261
; %bb.260:                              ;   in Loop: Header=BB2_254 Depth=2
	ds_read_b64 v[20:21], v28 offset:160
	ds_write_b64 v25, v[34:35] offset:152
	v_add_nc_u32_e32 v25, -8, v25
	s_or_b32 s18, s12, exec_lo
	s_waitcnt lgkmcnt(1)
	v_add_f64 v[22:23], v[23:24], -v[20:21]
	v_add_f64 v[20:21], v[34:35], -v[20:21]
	v_div_scale_f64 v[55:56], null, v[22:23], v[22:23], v[20:21]
	v_div_scale_f64 v[63:64], vcc_lo, v[20:21], v[22:23], v[20:21]
	v_rcp_f64_e32 v[59:60], v[55:56]
	v_fma_f64 v[61:62], -v[55:56], v[59:60], 1.0
	v_fma_f64 v[59:60], v[59:60], v[61:62], v[59:60]
	v_fma_f64 v[61:62], -v[55:56], v[59:60], 1.0
	v_fma_f64 v[59:60], v[59:60], v[61:62], v[59:60]
	v_mul_f64 v[61:62], v[63:64], v[59:60]
	v_fma_f64 v[55:56], -v[55:56], v[61:62], v[63:64]
	v_div_fmas_f64 v[55:56], v[55:56], v[59:60], v[61:62]
	ds_read_b64 v[59:60], v28
	ds_read_b64 v[61:62], v54
	v_div_fixup_f64 v[21:22], v[55:56], v[22:23], v[20:21]
	s_waitcnt lgkmcnt(0)
	v_add_f64 v[23:24], v[61:62], -v[59:60]
	v_mov_b32_e32 v20, v57
	v_fma_f64 v[23:24], v[21:22], v[23:24], v[59:60]
	ds_write_b64 v25, v[23:24]
.LBB2_261:                              ;   in Loop: Header=BB2_254 Depth=2
	s_or_b32 exec_lo, exec_lo, s14
	v_add_nc_u32_e32 v29, 0x50, v28
	v_add_nc_u32_e32 v25, -1, v27
	v_mov_b32_e32 v26, -2
	s_andn2_b32 s12, s12, exec_lo
	s_and_b32 s14, s18, exec_lo
	s_or_b32 s12, s12, s14
.LBB2_262:                              ;   in Loop: Header=BB2_254 Depth=2
	s_or_b32 exec_lo, exec_lo, s13
	s_and_saveexec_b32 s13, s12
	s_cbranch_execz .LBB2_253
; %bb.263:                              ;   in Loop: Header=BB2_254 Depth=2
	v_lshl_add_u32 v20, v20, 3, v69
	ds_read_b64 v[23:24], v29
	ds_read_b64 v[28:29], v20 offset:80
	s_waitcnt lgkmcnt(0)
	v_add_f64 v[28:29], v[28:29], -v[23:24]
	v_fma_f64 v[20:21], v[21:22], v[28:29], v[23:24]
	v_lshl_add_u32 v22, v25, 3, v69
	v_add_nc_u32_e32 v25, v26, v27
	ds_write_b64 v22, v[20:21] offset:80
	s_branch .LBB2_253
.LBB2_264:                              ;   in Loop: Header=BB2_127 Depth=1
	s_or_b32 exec_lo, exec_lo, s11
	v_add_nc_u32_e32 v18, 1, v25
	v_ashrrev_i32_e32 v19, 31, v18
.LBB2_265:                              ;   in Loop: Header=BB2_127 Depth=1
	s_or_b32 exec_lo, exec_lo, s4
	v_mov_b32_e32 v55, 0
	s_mov_b32 s4, exec_lo
	v_cmpx_ne_u64_e32 10, v[18:19]
	s_cbranch_execz .LBB2_279
; %bb.266:                              ;   in Loop: Header=BB2_127 Depth=1
	v_add_co_u32 v20, vcc_lo, v18, -10
	v_lshl_add_u32 v28, v18, 3, v69
	v_add_co_ci_u32_e64 v21, null, -1, v19, vcc_lo
	v_mov_b32_e32 v55, 0
	s_mov_b32 s11, 0
	v_mov_b32_e32 v22, 9
	v_mov_b32_e32 v23, 0
	s_branch .LBB2_268
.LBB2_267:                              ;   in Loop: Header=BB2_268 Depth=2
	s_or_b32 exec_lo, exec_lo, s13
	v_add_co_u32 v20, vcc_lo, v20, 1
	v_add_co_ci_u32_e64 v21, null, 0, v21, vcc_lo
	v_add_co_u32 v24, vcc_lo, v18, 1
	v_add_co_ci_u32_e64 v25, null, 0, v19, vcc_lo
	v_cmp_eq_u64_e32 vcc_lo, 0, v[20:21]
	v_mov_b32_e32 v23, v19
	v_mov_b32_e32 v22, v18
	;; [unrolled: 1-line block ×3, first 2 shown]
	v_add_nc_u32_e32 v28, 8, v28
	v_mov_b32_e32 v19, v25
	s_or_b32 s11, vcc_lo, s11
	s_andn2_b32 exec_lo, exec_lo, s11
	s_cbranch_execz .LBB2_278
.LBB2_268:                              ;   Parent Loop BB2_127 Depth=1
                                        ; =>  This Inner Loop Header: Depth=2
	v_lshl_add_u32 v29, v22, 3, v69
	s_mov_b32 s12, 0
	s_mov_b32 s13, exec_lo
                                        ; implicit-def: $vgpr22_vgpr23
	ds_read_b64 v[24:25], v29 offset:160
	s_waitcnt lgkmcnt(0)
	v_cmpx_le_f64_e32 0, v[24:25]
	s_xor_b32 s13, exec_lo, s13
	s_cbranch_execnz .LBB2_271
; %bb.269:                              ;   in Loop: Header=BB2_268 Depth=2
	s_andn2_saveexec_b32 s13, s13
	s_cbranch_execnz .LBB2_274
.LBB2_270:                              ;   in Loop: Header=BB2_268 Depth=2
	s_or_b32 exec_lo, exec_lo, s13
	s_and_saveexec_b32 s13, s12
	s_cbranch_execz .LBB2_267
	s_branch .LBB2_277
.LBB2_271:                              ;   in Loop: Header=BB2_268 Depth=2
	v_lshl_add_u32 v26, v55, 3, v69
	s_mov_b32 s14, exec_lo
	ds_write_b64 v26, v[24:25] offset:160
	ds_read_b64 v[22:23], v29
	s_waitcnt lgkmcnt(0)
	ds_write_b64 v26, v[22:23]
	ds_read_b64 v[22:23], v29 offset:80
	s_waitcnt lgkmcnt(0)
	ds_write_b64 v26, v[22:23] offset:80
	ds_read_b64 v[24:25], v28 offset:160
                                        ; implicit-def: $vgpr22_vgpr23
	s_waitcnt lgkmcnt(0)
	v_cmpx_gt_f64_e32 0, v[24:25]
	s_cbranch_execz .LBB2_273
; %bb.272:                              ;   in Loop: Header=BB2_268 Depth=2
	ds_read_b64 v[22:23], v29 offset:160
	v_add_f64 v[56:57], -v[24:25], 0
	v_mov_b32_e32 v54, v53
	s_mov_b32 s12, exec_lo
	ds_write_b64 v26, v[53:54] offset:168
	s_waitcnt lgkmcnt(1)
	v_add_f64 v[22:23], v[22:23], -v[24:25]
	v_div_scale_f64 v[24:25], null, v[22:23], v[22:23], v[56:57]
	v_div_scale_f64 v[62:63], vcc_lo, v[56:57], v[22:23], v[56:57]
	v_rcp_f64_e32 v[58:59], v[24:25]
	v_fma_f64 v[60:61], -v[24:25], v[58:59], 1.0
	v_fma_f64 v[58:59], v[58:59], v[60:61], v[58:59]
	v_fma_f64 v[60:61], -v[24:25], v[58:59], 1.0
	v_fma_f64 v[58:59], v[58:59], v[60:61], v[58:59]
	v_mul_f64 v[60:61], v[62:63], v[58:59]
	v_fma_f64 v[24:25], -v[24:25], v[60:61], v[62:63]
	ds_read_b64 v[62:63], v28
	v_div_fmas_f64 v[24:25], v[24:25], v[58:59], v[60:61]
	ds_read_b64 v[58:59], v29
	s_waitcnt lgkmcnt(0)
	v_add_f64 v[58:59], v[58:59], -v[62:63]
	v_div_fixup_f64 v[22:23], v[24:25], v[22:23], v[56:57]
	v_fma_f64 v[24:25], v[22:23], v[58:59], v[62:63]
	ds_write_b64 v26, v[24:25] offset:8
	ds_read_b64 v[24:25], v28 offset:80
	ds_read_b64 v[26:27], v29 offset:80
	s_waitcnt lgkmcnt(0)
	v_add_f64 v[26:27], v[26:27], -v[24:25]
	v_fma_f64 v[22:23], v[22:23], v[26:27], v[24:25]
.LBB2_273:                              ;   in Loop: Header=BB2_268 Depth=2
	s_or_b32 exec_lo, exec_lo, s14
	v_add_nc_u32_e32 v55, 1, v55
	s_and_b32 s12, s12, exec_lo
                                        ; implicit-def: $vgpr24_vgpr25
                                        ; implicit-def: $vgpr29
	s_andn2_saveexec_b32 s13, s13
	s_cbranch_execz .LBB2_270
.LBB2_274:                              ;   in Loop: Header=BB2_268 Depth=2
	ds_read_b64 v[26:27], v28 offset:160
	s_mov_b32 s18, s12
	s_mov_b32 s14, exec_lo
                                        ; implicit-def: $vgpr22_vgpr23
	s_waitcnt lgkmcnt(0)
	v_cmpx_le_f64_e32 0, v[26:27]
	s_cbranch_execz .LBB2_276
; %bb.275:                              ;   in Loop: Header=BB2_268 Depth=2
	v_add_f64 v[22:23], v[26:27], -v[24:25]
	v_add_f64 v[24:25], -v[24:25], 0
	v_lshl_add_u32 v62, v55, 3, v69
	v_mov_b32_e32 v54, v53
	s_or_b32 s18, s12, exec_lo
	ds_write_b64 v62, v[53:54] offset:160
	v_div_scale_f64 v[26:27], null, v[22:23], v[22:23], v[24:25]
	v_div_scale_f64 v[60:61], vcc_lo, v[24:25], v[22:23], v[24:25]
	v_rcp_f64_e32 v[56:57], v[26:27]
	v_fma_f64 v[58:59], -v[26:27], v[56:57], 1.0
	v_fma_f64 v[56:57], v[56:57], v[58:59], v[56:57]
	v_fma_f64 v[58:59], -v[26:27], v[56:57], 1.0
	v_fma_f64 v[56:57], v[56:57], v[58:59], v[56:57]
	v_mul_f64 v[58:59], v[60:61], v[56:57]
	v_fma_f64 v[26:27], -v[26:27], v[58:59], v[60:61]
	ds_read_b64 v[60:61], v29
	v_div_fmas_f64 v[26:27], v[26:27], v[56:57], v[58:59]
	ds_read_b64 v[56:57], v28
	s_waitcnt lgkmcnt(0)
	v_add_f64 v[56:57], v[56:57], -v[60:61]
	v_div_fixup_f64 v[22:23], v[26:27], v[22:23], v[24:25]
	v_fma_f64 v[24:25], v[22:23], v[56:57], v[60:61]
	ds_write_b64 v62, v[24:25]
	ds_read_b64 v[24:25], v29 offset:80
	ds_read_b64 v[26:27], v28 offset:80
	s_waitcnt lgkmcnt(0)
	v_add_f64 v[26:27], v[26:27], -v[24:25]
	v_fma_f64 v[22:23], v[22:23], v[26:27], v[24:25]
.LBB2_276:                              ;   in Loop: Header=BB2_268 Depth=2
	s_or_b32 exec_lo, exec_lo, s14
	s_andn2_b32 s12, s12, exec_lo
	s_and_b32 s14, s18, exec_lo
	s_or_b32 s12, s12, s14
	s_or_b32 exec_lo, exec_lo, s13
	s_and_saveexec_b32 s13, s12
	s_cbranch_execz .LBB2_267
.LBB2_277:                              ;   in Loop: Header=BB2_268 Depth=2
	v_lshl_add_u32 v24, v55, 3, v69
	v_add_nc_u32_e32 v55, 1, v55
	ds_write_b64 v24, v[22:23] offset:80
	s_branch .LBB2_267
.LBB2_278:                              ;   in Loop: Header=BB2_127 Depth=1
	s_or_b32 exec_lo, exec_lo, s11
.LBB2_279:                              ;   in Loop: Header=BB2_127 Depth=1
	s_or_b32 exec_lo, exec_lo, s4
	s_mov_b32 s4, exec_lo
	v_cmpx_lt_i32_e32 2, v55
	s_cbranch_execz .LBB2_126
; %bb.280:                              ;   in Loop: Header=BB2_127 Depth=1
	ds_read2_b64 v[18:21], v69 offset1:1
	ds_read2_b64 v[22:25], v69 offset0:10 offset1:11
	ds_read2_b64 v[26:29], v69 offset0:20 offset1:21
	v_add_co_u32 v54, s11, v55, -2
	v_mov_b32_e32 v56, 0
	v_mov_b32_e32 v58, 0
	;; [unrolled: 1-line block ×4, first 2 shown]
	v_add_co_ci_u32_e64 v55, null, 0, -1, s11
	v_mov_b32_e32 v57, 0
	v_mov_b32_e32 v59, 0
	v_mov_b32_e32 v61, 0
	v_mov_b32_e32 v63, 0
	v_mov_b32_e32 v64, v91
	s_mov_b32 s11, 0
.LBB2_281:                              ;   Parent Loop BB2_127 Depth=1
                                        ; =>  This Inner Loop Header: Depth=2
	ds_read2_b64 v[65:68], v64 offset1:10
	s_waitcnt lgkmcnt(1)
	v_add_f64 v[94:95], v[26:27], v[28:29]
	ds_read_b64 v[100:101], v64 offset:160
	v_add_f64 v[102:103], v[18:19], v[20:21]
	v_add_f64 v[104:105], v[18:19], -v[20:21]
	v_add_co_u32 v54, vcc_lo, v54, -1
	v_add_co_ci_u32_e64 v55, null, -1, v55, vcc_lo
	v_add_nc_u32_e32 v64, 8, v64
	v_cmp_eq_u64_e32 vcc_lo, 0, v[54:55]
	s_or_b32 s11, vcc_lo, s11
	s_waitcnt lgkmcnt(1)
	v_add_f64 v[96:97], v[24:25], v[67:68]
	v_add_f64 v[98:99], v[20:21], -v[65:66]
	v_add_f64 v[24:25], v[22:23], v[24:25]
	s_waitcnt lgkmcnt(0)
	v_add_f64 v[28:29], v[28:29], v[100:101]
	v_mul_f64 v[106:107], v[94:95], 0.5
	v_add_f64 v[20:21], v[20:21], v[65:66]
	v_add_f64 v[108:109], v[26:27], v[100:101]
	;; [unrolled: 1-line block ×3, first 2 shown]
	v_add_f64 v[112:113], v[65:66], -v[18:19]
	v_fma_f64 v[102:103], v[36:37], v[102:103], v[0:1]
	v_fma_f64 v[94:95], v[94:95], 0.5, 0
	v_mul_f64 v[98:99], v[98:99], v[96:97]
	v_fma_f64 v[114:115], v[38:39], v[24:25], v[4:5]
	v_mul_f64 v[116:117], v[28:29], 0.5
	v_fma_f64 v[118:119], v[106:107], 0.5, v[8:9]
	v_fma_f64 v[20:21], v[36:37], v[20:21], v[0:1]
	v_fma_f64 v[96:97], v[38:39], v[96:97], v[4:5]
	v_fma_f64 v[102:103], v[102:103], v[106:107], 0
	v_fma_f64 v[28:29], v[28:29], 0.5, v[94:95]
	v_fma_f64 v[24:25], v[104:105], v[24:25], v[98:99]
	v_add_f64 v[98:99], v[18:19], v[65:66]
	v_mul_f64 v[104:105], v[108:109], 0.5
	v_fma_f64 v[114:115], v[106:107], v[114:115], 0
	v_fma_f64 v[120:121], v[116:117], 0.5, v[8:9]
	v_fma_f64 v[106:107], v[106:107], v[118:119], 0
	v_fma_f64 v[20:21], v[20:21], v[116:117], v[102:103]
	v_fma_f64 v[28:29], v[108:109], 0.5, v[28:29]
	v_fma_f64 v[24:25], v[112:113], v[110:111], v[24:25]
	v_fma_f64 v[98:99], v[36:37], v[98:99], v[0:1]
	;; [unrolled: 1-line block ×3, first 2 shown]
	v_fma_f64 v[94:95], v[104:105], 0.5, v[8:9]
	v_fma_f64 v[96:97], v[116:117], v[96:97], v[114:115]
	v_fma_f64 v[102:103], v[116:117], v[120:121], v[106:107]
	v_mul_f64 v[24:25], v[24:25], 0.5
	v_fma_f64 v[20:21], v[98:99], v[104:105], v[20:21]
	v_fma_f64 v[96:97], v[104:105], v[110:111], v[96:97]
	;; [unrolled: 1-line block ×3, first 2 shown]
	v_mul_f64 v[24:25], v[24:25], s[8:9]
	v_fma_f64 v[56:57], v[28:29], v[24:25], v[56:57]
	v_fma_f64 v[58:59], v[24:25], v[20:21], v[58:59]
	;; [unrolled: 1-line block ×4, first 2 shown]
	v_mov_b32_e32 v20, v65
	v_mov_b32_e32 v24, v67
	;; [unrolled: 1-line block ×6, first 2 shown]
	s_andn2_b32 exec_lo, exec_lo, s11
	s_cbranch_execnz .LBB2_281
; %bb.282:                              ;   in Loop: Header=BB2_127 Depth=1
	s_or_b32 exec_lo, exec_lo, s11
	v_fma_f64 v[14:15], v[2:3], v[56:57], v[14:15]
	v_fma_f64 v[16:17], v[2:3], v[58:59], v[16:17]
	;; [unrolled: 1-line block ×4, first 2 shown]
	s_branch .LBB2_126
.LBB2_283:
	s_or_b32 exec_lo, exec_lo, s10
.LBB2_284:
	s_or_b32 exec_lo, exec_lo, s5
	buffer_load_dword v18, off, s[0:3], 0 offset:4
	v_perm_b32 v24, v43, v82, 0xc0c0004
	v_perm_b32 v43, v77, v46, 0xc0c0004
	v_perm_b32 v21, v41, v74, 0xc0c0004
	v_perm_b32 v22, v47, v72, 0xc0c0004
	v_perm_b32 v41, v44, v75, 0xc0c0004
	v_lshlrev_b16 v44, 8, v75
	v_lshlrev_b32_e32 v43, 16, v43
	v_perm_b32 v23, v49, v50, 0xc0c0004
	v_lshl_or_b32 v19, v22, 16, v21
	v_lshrrev_b32_e32 v50, 8, v21
	v_lshlrev_b16 v20, 8, v73
	v_or_b32_e32 v41, v41, v43
	v_or_b32_sdwa v43, v44, v43 dst_sel:DWORD dst_unused:UNUSED_PAD src0_sel:WORD_0 src1_sel:DWORD
	v_and_b32_e32 v47, 0xff, v47
	v_lshrrev_b32_e32 v22, 8, v22
	v_or_b32_sdwa v40, v40, v20 dst_sel:DWORD dst_unused:UNUSED_PAD src0_sel:BYTE_0 src1_sel:DWORD
	v_perm_b32 v26, v71, v48, 0xc0c0004
	v_and_b32_e32 v48, 0xff, v49
	v_lshrrev_b32_e32 v51, 8, v23
	v_perm_b32 v25, v70, v79, 0xc0c0004
	v_and_b32_e32 v54, 0xffff, v40
	v_lshrrev_b32_e32 v49, 8, v24
	v_lshlrev_b16 v27, 8, v80
	v_and_b32_e32 v46, 0xff, v70
	v_lshl_or_b32 v20, v25, 16, v24
	v_lshrrev_b32_e32 v44, 8, v54
	v_lshrrev_b32_e32 v25, 8, v25
	v_or_b32_sdwa v27, v42, v27 dst_sel:DWORD dst_unused:UNUSED_PAD src0_sel:BYTE_0 src1_sel:DWORD
	v_perm_b32 v29, v78, v76, 0xc0c0004
	v_lshl_or_b32 v23, v23, 16, v54
	v_perm_b32 v28, v45, v81, 0xc0c0004
	v_and_b32_e32 v45, 0xff, v71
	v_and_b32_e32 v55, 0xffff, v27
	v_lshlrev_b32_e32 v42, 16, v29
	v_lshrrev_b32_e32 v52, 8, v26
	v_bfe_u32 v53, v29, 8, 8
	s_mov_b32 s9, 0
	v_lshrrev_b32_e32 v54, 8, v55
	v_or_b32_e32 v42, v28, v42
	v_lshl_or_b32 v26, v26, 16, v55
	s_mov_b32 s8, exec_lo
	v_lshrrev_b32_e32 v55, 8, v42
	s_waitcnt vmcnt(0)
	v_and_b32_e32 v56, 1, v18
	v_bfe_u32 v58, v18, 1, 1
	v_and_b32_e32 v57, 2, v18
	v_bfe_u32 v60, v18, 2, 1
	v_bfe_u32 v62, v18, 3, 1
	v_cmp_ne_u32_e64 s4, 20, v56
	v_cmp_eq_u32_e32 vcc_lo, 0, v56
	v_bfe_u32 v64, v18, 4, 1
	v_and_b32_e32 v59, 4, v18
	v_and_b32_e32 v61, 8, v18
	v_cndmask_b32_e64 v21, 1, v21, s4
	v_cmp_ne_u32_e64 s4, 21, v56
	v_cndmask_b32_e32 v41, v43, v41, vcc_lo
	v_and_b32_e32 v63, 16, v18
	v_cndmask_b32_e64 v43, 1, v50, s4
	v_cmp_ne_u32_e64 s4, 22, v56
	v_lshrrev_b32_e32 v65, 8, v41
	v_lshrrev_b32_e32 v66, 24, v41
	;; [unrolled: 1-line block ×3, first 2 shown]
	v_lshlrev_b16 v43, 8, v43
	v_cndmask_b32_e64 v47, 1, v47, s4
	v_cmp_ne_u32_e64 s4, 23, v56
	v_or_b32_sdwa v21, v21, v43 dst_sel:DWORD dst_unused:UNUSED_PAD src0_sel:BYTE_0 src1_sel:DWORD
	v_cndmask_b32_e64 v22, 1, v22, s4
	v_cmp_ne_u32_e64 s4, 16, v56
	v_lshlrev_b16 v22, 8, v22
	v_cndmask_b32_e64 v40, 1, v40, s4
	v_cmp_ne_u32_e64 s4, 17, v56
	v_or_b32_sdwa v22, v47, v22 dst_sel:WORD_1 dst_unused:UNUSED_PAD src0_sel:DWORD src1_sel:DWORD
	v_cndmask_b32_e64 v44, 1, v44, s4
	v_cmp_ne_u32_e64 s4, 18, v56
	v_or_b32_sdwa v21, v21, v22 dst_sel:DWORD dst_unused:UNUSED_PAD src0_sel:WORD_0 src1_sel:DWORD
	v_lshlrev_b16 v44, 8, v44
	v_cndmask_b32_e64 v48, 1, v48, s4
	v_cmp_ne_u32_e64 s4, 19, v56
	v_or_b32_sdwa v40, v40, v44 dst_sel:DWORD dst_unused:UNUSED_PAD src0_sel:BYTE_0 src1_sel:DWORD
	v_cndmask_b32_e64 v50, 1, v51, s4
	v_cmp_ne_u32_e64 s4, 12, v56
	v_lshlrev_b16 v50, 8, v50
	v_cndmask_b32_e64 v24, 1, v24, s4
	v_cmp_ne_u32_e64 s4, 13, v56
	v_or_b32_sdwa v43, v48, v50 dst_sel:WORD_1 dst_unused:UNUSED_PAD src0_sel:DWORD src1_sel:DWORD
	v_cndmask_b32_e64 v49, 1, v49, s4
	v_cmp_ne_u32_e64 s4, 14, v56
	v_or_b32_sdwa v22, v40, v43 dst_sel:DWORD dst_unused:UNUSED_PAD src0_sel:WORD_0 src1_sel:DWORD
	;; [unrolled: 13-line block ×3, first 2 shown]
	v_lshlrev_b16 v51, 8, v51
	v_cndmask_b32_e64 v45, 1, v45, s4
	v_cmp_ne_u32_e64 s4, 11, v56
	v_or_b32_sdwa v27, v27, v51 dst_sel:DWORD dst_unused:UNUSED_PAD src0_sel:BYTE_0 src1_sel:DWORD
	v_cndmask_b32_e64 v52, 1, v52, s4
	v_cmp_ne_u32_e64 s4, 5, v56
	v_lshlrev_b16 v52, 8, v52
	v_cndmask_b32_e64 v54, 1, v55, s4
	v_cmp_ne_u32_e64 s4, 4, v56
	v_add_nc_u32_e32 v55, v58, v56
	v_cndmask_b32_e64 v58, v41, 1, vcc_lo
	v_cmp_eq_u32_e32 vcc_lo, 1, v56
	v_lshlrev_b16 v54, 8, v54
	v_cndmask_b32_e64 v28, 1, v28, s4
	v_cmp_ne_u32_e64 s4, 6, v56
	v_or_b32_sdwa v45, v45, v52 dst_sel:WORD_1 dst_unused:UNUSED_PAD src0_sel:DWORD src1_sel:DWORD
	v_cndmask_b32_e64 v65, v65, 1, vcc_lo
	v_cmp_ne_u32_e32 vcc_lo, 3, v56
	v_or_b32_sdwa v28, v28, v54 dst_sel:DWORD dst_unused:UNUSED_PAD src0_sel:BYTE_0 src1_sel:DWORD
	v_cndmask_b32_e64 v29, 1, v29, s4
	v_cmp_ne_u32_e64 s4, 7, v56
	v_lshlrev_b16 v44, 8, v65
	v_cndmask_b32_e32 v66, 1, v66, vcc_lo
	v_cmp_ne_u32_e32 vcc_lo, 2, v56
	v_or_b32_sdwa v27, v27, v45 dst_sel:DWORD dst_unused:UNUSED_PAD src0_sel:WORD_0 src1_sel:DWORD
	v_cndmask_b32_e64 v53, 1, v53, s4
	v_or_b32_sdwa v44, v58, v44 dst_sel:DWORD dst_unused:UNUSED_PAD src0_sel:BYTE_0 src1_sel:DWORD
	v_lshlrev_b16 v46, 8, v66
	v_cndmask_b32_e32 v56, 1, v67, vcc_lo
	v_cmp_eq_u32_e32 vcc_lo, 0, v57
	v_lshlrev_b16 v53, 8, v53
	v_add_nc_u32_e32 v60, v55, v60
	v_or_b32_sdwa v46, v56, v46 dst_sel:WORD_1 dst_unused:UNUSED_PAD src0_sel:BYTE_0 src1_sel:DWORD
	v_cndmask_b32_e32 v26, v27, v26, vcc_lo
	v_or_b32_sdwa v29, v29, v53 dst_sel:WORD_1 dst_unused:UNUSED_PAD src0_sel:BYTE_0 src1_sel:DWORD
	v_cndmask_b32_e32 v20, v24, v20, vcc_lo
	v_cndmask_b32_e32 v22, v22, v23, vcc_lo
	;; [unrolled: 1-line block ×3, first 2 shown]
	v_lshrrev_b32_e32 v54, 8, v26
	v_or_b32_sdwa v28, v28, v29 dst_sel:DWORD dst_unused:UNUSED_PAD src0_sel:WORD_0 src1_sel:DWORD
	v_or_b32_sdwa v29, v44, v46 dst_sel:DWORD dst_unused:UNUSED_PAD src0_sel:WORD_0 src1_sel:DWORD
	v_lshrrev_b32_e32 v45, 8, v22
	v_lshrrev_b32_e32 v43, 16, v19
	;; [unrolled: 1-line block ×3, first 2 shown]
	v_cndmask_b32_e32 v28, v28, v42, vcc_lo
	v_cndmask_b32_e32 v29, v29, v41, vcc_lo
	v_cmp_ne_u32_e32 vcc_lo, 0, v55
	v_lshrrev_b32_e32 v41, 8, v19
	v_lshrrev_b32_e32 v42, 24, v19
	;; [unrolled: 1-line block ×4, first 2 shown]
	v_cndmask_b32_e32 v21, 2, v29, vcc_lo
	v_cmp_ne_u32_e32 vcc_lo, 20, v55
	v_lshrrev_b32_e32 v24, 24, v29
	v_lshrrev_b32_e32 v27, 16, v29
	;; [unrolled: 1-line block ×4, first 2 shown]
	v_cndmask_b32_e32 v40, 2, v19, vcc_lo
	v_cmp_ne_u32_e32 vcc_lo, 16, v55
	v_lshrrev_b32_e32 v52, 16, v20
	v_lshrrev_b32_e32 v56, 24, v26
	;; [unrolled: 1-line block ×3, first 2 shown]
	v_add_nc_u32_e32 v47, v60, v62
	v_cndmask_b32_e32 v44, 2, v22, vcc_lo
	v_cmp_ne_u32_e32 vcc_lo, 12, v55
	v_lshrrev_b32_e32 v62, 8, v28
	v_lshrrev_b32_e32 v65, 16, v28
	v_add_nc_u32_e32 v25, v47, v64
	v_lshrrev_b32_e32 v64, 24, v28
	v_cndmask_b32_e32 v49, 2, v20, vcc_lo
	v_cmp_ne_u32_e32 vcc_lo, 8, v55
	v_cndmask_b32_e32 v53, 2, v26, vcc_lo
	v_cmp_ne_u32_e32 vcc_lo, 4, v55
	;; [unrolled: 2-line block ×4, first 2 shown]
	v_lshlrev_b16 v23, 8, v23
	v_cndmask_b32_e32 v24, 2, v24, vcc_lo
	v_cmp_ne_u32_e32 vcc_lo, 2, v55
	v_or_b32_sdwa v21, v21, v23 dst_sel:DWORD dst_unused:UNUSED_PAD src0_sel:BYTE_0 src1_sel:DWORD
	v_lshlrev_b16 v24, 8, v24
	v_cndmask_b32_e32 v27, 2, v27, vcc_lo
	v_cmp_ne_u32_e32 vcc_lo, 21, v55
	v_or_b32_sdwa v23, v27, v24 dst_sel:WORD_1 dst_unused:UNUSED_PAD src0_sel:BYTE_0 src1_sel:DWORD
	v_cndmask_b32_e32 v41, 2, v41, vcc_lo
	v_cmp_ne_u32_e32 vcc_lo, 23, v55
	v_or_b32_sdwa v21, v21, v23 dst_sel:DWORD dst_unused:UNUSED_PAD src0_sel:WORD_0 src1_sel:DWORD
	v_lshlrev_b16 v41, 8, v41
	v_cndmask_b32_e32 v42, 2, v42, vcc_lo
	v_cmp_ne_u32_e32 vcc_lo, 22, v55
	v_or_b32_sdwa v24, v40, v41 dst_sel:DWORD dst_unused:UNUSED_PAD src0_sel:BYTE_0 src1_sel:DWORD
	v_lshlrev_b16 v42, 8, v42
	v_cndmask_b32_e32 v43, 2, v43, vcc_lo
	v_cmp_ne_u32_e32 vcc_lo, 17, v55
	v_or_b32_sdwa v27, v43, v42 dst_sel:WORD_1 dst_unused:UNUSED_PAD src0_sel:BYTE_0 src1_sel:DWORD
	v_cndmask_b32_e32 v45, 2, v45, vcc_lo
	v_cmp_ne_u32_e32 vcc_lo, 19, v55
	v_or_b32_sdwa v23, v24, v27 dst_sel:DWORD dst_unused:UNUSED_PAD src0_sel:WORD_0 src1_sel:DWORD
	;; [unrolled: 11-line block ×5, first 2 shown]
	v_lshlrev_b16 v62, 8, v62
	v_cndmask_b32_e32 v64, 2, v64, vcc_lo
	v_cmp_ne_u32_e32 vcc_lo, 6, v55
	v_or_b32_sdwa v45, v58, v62 dst_sel:DWORD dst_unused:UNUSED_PAD src0_sel:BYTE_0 src1_sel:DWORD
	v_lshlrev_b16 v64, 8, v64
	v_cndmask_b32_e32 v55, 2, v65, vcc_lo
	v_cmp_eq_u32_e32 vcc_lo, 0, v59
	v_or_b32_sdwa v46, v55, v64 dst_sel:WORD_1 dst_unused:UNUSED_PAD src0_sel:BYTE_0 src1_sel:DWORD
	v_cndmask_b32_e32 v21, v21, v29, vcc_lo
	v_cndmask_b32_e32 v26, v27, v26, vcc_lo
	;; [unrolled: 1-line block ×4, first 2 shown]
	v_or_b32_sdwa v24, v45, v46 dst_sel:DWORD dst_unused:UNUSED_PAD src0_sel:WORD_0 src1_sel:DWORD
	v_cndmask_b32_e32 v19, v23, v19, vcc_lo
	v_lshrrev_b32_e32 v27, 8, v21
	v_lshrrev_b32_e32 v29, 16, v21
	v_lshrrev_b32_e32 v45, 8, v22
	v_cndmask_b32_e32 v24, v24, v28, vcc_lo
	v_cmp_ne_u32_e32 vcc_lo, 0, v60
	v_lshrrev_b32_e32 v28, 24, v21
	v_lshrrev_b32_e32 v41, 8, v19
	v_lshrrev_b32_e32 v42, 24, v19
	v_lshrrev_b32_e32 v43, 16, v19
	v_cndmask_b32_e32 v23, 3, v21, vcc_lo
	v_cmp_ne_u32_e32 vcc_lo, 20, v60
	v_lshrrev_b32_e32 v46, 24, v22
	;; [unrolled: 6-line block ×4, first 2 shown]
	v_lshrrev_b32_e32 v59, 24, v24
	v_lshrrev_b32_e32 v62, 16, v24
	v_cndmask_b32_e32 v49, 3, v20, vcc_lo
	v_cmp_ne_u32_e32 vcc_lo, 8, v60
	v_cndmask_b32_e32 v53, 3, v26, vcc_lo
	v_cmp_ne_u32_e32 vcc_lo, 4, v60
	;; [unrolled: 2-line block ×4, first 2 shown]
	v_lshlrev_b16 v27, 8, v27
	v_cndmask_b32_e32 v28, 3, v28, vcc_lo
	v_cmp_ne_u32_e32 vcc_lo, 2, v60
	v_or_b32_sdwa v23, v23, v27 dst_sel:DWORD dst_unused:UNUSED_PAD src0_sel:BYTE_0 src1_sel:DWORD
	v_lshlrev_b16 v28, 8, v28
	v_cndmask_b32_e32 v29, 3, v29, vcc_lo
	v_cmp_ne_u32_e32 vcc_lo, 21, v60
	v_or_b32_sdwa v27, v29, v28 dst_sel:WORD_1 dst_unused:UNUSED_PAD src0_sel:BYTE_0 src1_sel:DWORD
	v_cndmask_b32_e32 v41, 3, v41, vcc_lo
	v_cmp_ne_u32_e32 vcc_lo, 23, v60
	v_or_b32_sdwa v23, v23, v27 dst_sel:DWORD dst_unused:UNUSED_PAD src0_sel:WORD_0 src1_sel:DWORD
	v_lshlrev_b16 v41, 8, v41
	v_cndmask_b32_e32 v42, 3, v42, vcc_lo
	v_cmp_ne_u32_e32 vcc_lo, 22, v60
	v_or_b32_sdwa v28, v40, v41 dst_sel:DWORD dst_unused:UNUSED_PAD src0_sel:BYTE_0 src1_sel:DWORD
	v_lshlrev_b16 v42, 8, v42
	v_cndmask_b32_e32 v43, 3, v43, vcc_lo
	v_cmp_ne_u32_e32 vcc_lo, 17, v60
	v_or_b32_sdwa v29, v43, v42 dst_sel:WORD_1 dst_unused:UNUSED_PAD src0_sel:BYTE_0 src1_sel:DWORD
	v_cndmask_b32_e32 v45, 3, v45, vcc_lo
	v_cmp_ne_u32_e32 vcc_lo, 19, v60
	v_or_b32_sdwa v27, v28, v29 dst_sel:DWORD dst_unused:UNUSED_PAD src0_sel:WORD_0 src1_sel:DWORD
	;; [unrolled: 11-line block ×5, first 2 shown]
	v_lshlrev_b16 v58, 8, v58
	v_cndmask_b32_e32 v59, 3, v59, vcc_lo
	v_cmp_ne_u32_e32 vcc_lo, 6, v60
	v_or_b32_sdwa v45, v57, v58 dst_sel:DWORD dst_unused:UNUSED_PAD src0_sel:BYTE_0 src1_sel:DWORD
	v_lshlrev_b16 v59, 8, v59
	v_cndmask_b32_e32 v60, 3, v62, vcc_lo
	v_cmp_eq_u32_e32 vcc_lo, 0, v61
	v_or_b32_sdwa v46, v60, v59 dst_sel:WORD_1 dst_unused:UNUSED_PAD src0_sel:BYTE_0 src1_sel:DWORD
	v_cndmask_b32_e32 v21, v23, v21, vcc_lo
	v_cndmask_b32_e32 v20, v42, v20, vcc_lo
	;; [unrolled: 1-line block ×4, first 2 shown]
	v_or_b32_sdwa v28, v45, v46 dst_sel:DWORD dst_unused:UNUSED_PAD src0_sel:WORD_0 src1_sel:DWORD
	v_lshrrev_b32_e32 v27, 8, v21
	v_lshrrev_b32_e32 v50, 8, v20
	;; [unrolled: 1-line block ×4, first 2 shown]
	v_cndmask_b32_e32 v23, v28, v24, vcc_lo
	v_cndmask_b32_e32 v24, v29, v26, vcc_lo
	v_cmp_ne_u32_e32 vcc_lo, 0, v47
	v_lshrrev_b32_e32 v28, 24, v21
	v_lshrrev_b32_e32 v29, 16, v21
	v_lshrrev_b32_e32 v42, 24, v19
	v_lshrrev_b32_e32 v43, 16, v19
	v_cndmask_b32_e32 v26, 4, v21, vcc_lo
	v_cmp_ne_u32_e32 vcc_lo, 20, v47
	v_lshrrev_b32_e32 v46, 24, v22
	v_lshrrev_b32_e32 v48, 16, v22
	v_lshrrev_b32_e32 v51, 24, v20
	v_lshrrev_b32_e32 v52, 16, v20
	;; [unrolled: 6-line block ×3, first 2 shown]
	v_cndmask_b32_e32 v44, 4, v22, vcc_lo
	v_cmp_ne_u32_e32 vcc_lo, 12, v47
	v_lshrrev_b32_e32 v59, 24, v23
	v_lshrrev_b32_e32 v60, 16, v23
	v_cndmask_b32_e32 v49, 4, v20, vcc_lo
	v_cmp_ne_u32_e32 vcc_lo, 8, v47
	v_cndmask_b32_e32 v53, 4, v24, vcc_lo
	v_cmp_ne_u32_e32 vcc_lo, 4, v47
	;; [unrolled: 2-line block ×4, first 2 shown]
	v_lshlrev_b16 v27, 8, v27
	v_cndmask_b32_e32 v28, 4, v28, vcc_lo
	v_cmp_ne_u32_e32 vcc_lo, 2, v47
	v_or_b32_sdwa v26, v26, v27 dst_sel:DWORD dst_unused:UNUSED_PAD src0_sel:BYTE_0 src1_sel:DWORD
	v_lshlrev_b16 v28, 8, v28
	v_cndmask_b32_e32 v29, 4, v29, vcc_lo
	v_cmp_ne_u32_e32 vcc_lo, 21, v47
	v_or_b32_sdwa v27, v29, v28 dst_sel:WORD_1 dst_unused:UNUSED_PAD src0_sel:BYTE_0 src1_sel:DWORD
	v_cndmask_b32_e32 v41, 4, v41, vcc_lo
	v_cmp_ne_u32_e32 vcc_lo, 23, v47
	v_or_b32_sdwa v26, v26, v27 dst_sel:DWORD dst_unused:UNUSED_PAD src0_sel:WORD_0 src1_sel:DWORD
	v_lshlrev_b16 v41, 8, v41
	v_cndmask_b32_e32 v42, 4, v42, vcc_lo
	v_cmp_ne_u32_e32 vcc_lo, 22, v47
	v_or_b32_sdwa v28, v40, v41 dst_sel:DWORD dst_unused:UNUSED_PAD src0_sel:BYTE_0 src1_sel:DWORD
	v_lshlrev_b16 v42, 8, v42
	v_cndmask_b32_e32 v43, 4, v43, vcc_lo
	v_cmp_ne_u32_e32 vcc_lo, 17, v47
	v_or_b32_sdwa v29, v43, v42 dst_sel:WORD_1 dst_unused:UNUSED_PAD src0_sel:BYTE_0 src1_sel:DWORD
	v_cndmask_b32_e32 v45, 4, v45, vcc_lo
	v_cmp_ne_u32_e32 vcc_lo, 19, v47
	v_or_b32_sdwa v27, v28, v29 dst_sel:DWORD dst_unused:UNUSED_PAD src0_sel:WORD_0 src1_sel:DWORD
	v_lshlrev_b16 v45, 8, v45
	v_cndmask_b32_e32 v46, 4, v46, vcc_lo
	v_cmp_ne_u32_e32 vcc_lo, 18, v47
	v_or_b32_sdwa v40, v44, v45 dst_sel:DWORD dst_unused:UNUSED_PAD src0_sel:BYTE_0 src1_sel:DWORD
	v_lshlrev_b16 v46, 8, v46
	v_cndmask_b32_e32 v48, 4, v48, vcc_lo
	v_cmp_ne_u32_e32 vcc_lo, 13, v47
	v_or_b32_sdwa v41, v48, v46 dst_sel:WORD_1 dst_unused:UNUSED_PAD src0_sel:BYTE_0 src1_sel:DWORD
	v_cndmask_b32_e32 v50, 4, v50, vcc_lo
	v_cmp_ne_u32_e32 vcc_lo, 15, v47
	v_lshlrev_b16 v50, 8, v50
	v_cndmask_b32_e32 v51, 4, v51, vcc_lo
	v_cmp_ne_u32_e32 vcc_lo, 14, v47
	v_or_b32_sdwa v42, v49, v50 dst_sel:DWORD dst_unused:UNUSED_PAD src0_sel:BYTE_0 src1_sel:DWORD
	v_lshlrev_b16 v51, 8, v51
	v_cndmask_b32_e32 v52, 4, v52, vcc_lo
	v_cmp_ne_u32_e32 vcc_lo, 9, v47
	v_or_b32_sdwa v43, v52, v51 dst_sel:WORD_1 dst_unused:UNUSED_PAD src0_sel:BYTE_0 src1_sel:DWORD
	v_cndmask_b32_e32 v54, 4, v54, vcc_lo
	v_cmp_ne_u32_e32 vcc_lo, 11, v47
	v_or_b32_sdwa v42, v42, v43 dst_sel:DWORD dst_unused:UNUSED_PAD src0_sel:WORD_0 src1_sel:DWORD
	v_lshlrev_b16 v54, 8, v54
	v_cndmask_b32_e32 v55, 4, v55, vcc_lo
	v_cmp_ne_u32_e32 vcc_lo, 10, v47
	v_or_b32_sdwa v44, v53, v54 dst_sel:DWORD dst_unused:UNUSED_PAD src0_sel:BYTE_0 src1_sel:DWORD
	v_lshlrev_b16 v55, 8, v55
	v_cndmask_b32_e32 v56, 4, v56, vcc_lo
	v_cmp_ne_u32_e32 vcc_lo, 5, v47
	v_cndmask_b32_e32 v58, 4, v58, vcc_lo
	v_cmp_ne_u32_e32 vcc_lo, 7, v47
	v_lshlrev_b16 v58, 8, v58
	v_cndmask_b32_e32 v59, 4, v59, vcc_lo
	v_cmp_ne_u32_e32 vcc_lo, 6, v47
	v_or_b32_sdwa v45, v57, v58 dst_sel:DWORD dst_unused:UNUSED_PAD src0_sel:BYTE_0 src1_sel:DWORD
	v_lshlrev_b16 v59, 8, v59
	v_cndmask_b32_e32 v47, 4, v60, vcc_lo
	v_cmp_eq_u32_e32 vcc_lo, 0, v63
	v_or_b32_sdwa v46, v47, v59 dst_sel:WORD_1 dst_unused:UNUSED_PAD src0_sel:BYTE_0 src1_sel:DWORD
	v_or_b32_sdwa v47, v56, v55 dst_sel:WORD_1 dst_unused:UNUSED_PAD src0_sel:BYTE_0 src1_sel:DWORD
	v_cndmask_b32_e32 v21, v26, v21, vcc_lo
	v_or_b32_sdwa v26, v40, v41 dst_sel:DWORD dst_unused:UNUSED_PAD src0_sel:WORD_0 src1_sel:DWORD
	v_cndmask_b32_e32 v20, v42, v20, vcc_lo
	v_or_b32_sdwa v28, v45, v46 dst_sel:DWORD dst_unused:UNUSED_PAD src0_sel:WORD_0 src1_sel:DWORD
	v_or_b32_sdwa v29, v44, v47 dst_sel:DWORD dst_unused:UNUSED_PAD src0_sel:WORD_0 src1_sel:DWORD
	v_cndmask_b32_e32 v19, v27, v19, vcc_lo
	v_cndmask_b32_e32 v22, v26, v22, vcc_lo
	v_lshrrev_b32_e32 v26, 24, v21
	v_cndmask_b32_e32 v23, v28, v23, vcc_lo
	v_cndmask_b32_e32 v24, v29, v24, vcc_lo
	v_lshrrev_b32_e32 v28, 8, v21
	v_cmp_ne_u32_e32 vcc_lo, 1, v25
	v_lshrrev_b32_e32 v41, 8, v19
	v_lshrrev_b32_e32 v45, 16, v20
	;; [unrolled: 1-line block ×4, first 2 shown]
	v_cndmask_b32_e32 v27, 5, v28, vcc_lo
	v_cmp_ne_u32_e32 vcc_lo, 3, v25
	v_lshrrev_b32_e32 v28, 16, v21
	v_and_b32_e32 v40, 32, v18
	v_lshlrev_b16 v27, 8, v27
	v_cndmask_b32_e32 v26, 5, v26, vcc_lo
	v_cmp_ne_u32_e32 vcc_lo, 0, v25
	v_lshlrev_b16 v26, 8, v26
	v_cndmask_b32_e32 v29, 5, v21, vcc_lo
	v_cmp_ne_u32_e32 vcc_lo, 2, v25
	v_or_b32_sdwa v27, v29, v27 dst_sel:DWORD dst_unused:UNUSED_PAD src0_sel:BYTE_0 src1_sel:DWORD
	v_cndmask_b32_e32 v28, 5, v28, vcc_lo
	v_cmp_ne_u32_e32 vcc_lo, 21, v25
	v_lshrrev_b32_e32 v29, 24, v19
	v_or_b32_sdwa v26, v28, v26 dst_sel:WORD_1 dst_unused:UNUSED_PAD src0_sel:BYTE_0 src1_sel:DWORD
	v_cndmask_b32_e32 v28, 5, v41, vcc_lo
	v_cmp_ne_u32_e32 vcc_lo, 23, v25
	v_lshrrev_b32_e32 v41, 16, v19
	v_or_b32_sdwa v26, v27, v26 dst_sel:DWORD dst_unused:UNUSED_PAD src0_sel:WORD_0 src1_sel:DWORD
	v_lshlrev_b16 v28, 8, v28
	v_cndmask_b32_e32 v29, 5, v29, vcc_lo
	v_cmp_ne_u32_e32 vcc_lo, 20, v25
	v_lshrrev_b32_e32 v27, 8, v22
	v_lshlrev_b16 v29, 8, v29
	v_cndmask_b32_e32 v42, 5, v19, vcc_lo
	v_cmp_ne_u32_e32 vcc_lo, 22, v25
	v_or_b32_sdwa v28, v42, v28 dst_sel:DWORD dst_unused:UNUSED_PAD src0_sel:BYTE_0 src1_sel:DWORD
	v_cndmask_b32_e32 v41, 5, v41, vcc_lo
	v_cmp_ne_u32_e32 vcc_lo, 17, v25
	v_lshrrev_b32_e32 v42, 24, v22
	v_or_b32_sdwa v29, v41, v29 dst_sel:WORD_1 dst_unused:UNUSED_PAD src0_sel:BYTE_0 src1_sel:DWORD
	v_cndmask_b32_e32 v27, 5, v27, vcc_lo
	v_cmp_ne_u32_e32 vcc_lo, 19, v25
	v_or_b32_sdwa v28, v28, v29 dst_sel:DWORD dst_unused:UNUSED_PAD src0_sel:WORD_0 src1_sel:DWORD
	v_lshlrev_b16 v27, 8, v27
	v_cndmask_b32_e32 v41, 5, v42, vcc_lo
	v_cmp_ne_u32_e32 vcc_lo, 16, v25
	v_lshrrev_b32_e32 v42, 16, v22
	v_lshrrev_b32_e32 v29, 8, v20
	v_lshlrev_b16 v41, 8, v41
	v_cndmask_b32_e32 v43, 5, v22, vcc_lo
	v_cmp_ne_u32_e32 vcc_lo, 18, v25
	v_or_b32_sdwa v27, v43, v27 dst_sel:DWORD dst_unused:UNUSED_PAD src0_sel:BYTE_0 src1_sel:DWORD
	v_cndmask_b32_e32 v42, 5, v42, vcc_lo
	v_cmp_ne_u32_e32 vcc_lo, 13, v25
	v_lshrrev_b32_e32 v43, 24, v20
	v_or_b32_sdwa v41, v42, v41 dst_sel:WORD_1 dst_unused:UNUSED_PAD src0_sel:BYTE_0 src1_sel:DWORD
	v_cndmask_b32_e32 v29, 5, v29, vcc_lo
	v_cmp_ne_u32_e32 vcc_lo, 15, v25
	v_or_b32_sdwa v27, v27, v41 dst_sel:DWORD dst_unused:UNUSED_PAD src0_sel:WORD_0 src1_sel:DWORD
	v_lshlrev_b16 v29, 8, v29
	v_cndmask_b32_e32 v42, 5, v43, vcc_lo
	v_cmp_ne_u32_e32 vcc_lo, 12, v25
	v_lshrrev_b32_e32 v41, 24, v24
	v_lshlrev_b16 v42, 8, v42
	v_cndmask_b32_e32 v43, 5, v20, vcc_lo
	v_cmp_ne_u32_e32 vcc_lo, 9, v25
	v_or_b32_sdwa v29, v43, v29 dst_sel:DWORD dst_unused:UNUSED_PAD src0_sel:BYTE_0 src1_sel:DWORD
	v_cndmask_b32_e32 v44, 5, v44, vcc_lo
	v_cmp_ne_u32_e32 vcc_lo, 14, v25
	v_lshlrev_b16 v44, 8, v44
	v_cndmask_b32_e32 v45, 5, v45, vcc_lo
	v_cmp_ne_u32_e32 vcc_lo, 8, v25
	v_or_b32_sdwa v42, v45, v42 dst_sel:WORD_1 dst_unused:UNUSED_PAD src0_sel:BYTE_0 src1_sel:DWORD
	v_cndmask_b32_e32 v46, 5, v24, vcc_lo
	v_cmp_ne_u32_e32 vcc_lo, 11, v25
	v_lshrrev_b32_e32 v45, 24, v23
	v_or_b32_sdwa v29, v29, v42 dst_sel:DWORD dst_unused:UNUSED_PAD src0_sel:WORD_0 src1_sel:DWORD
	v_or_b32_sdwa v43, v46, v44 dst_sel:DWORD dst_unused:UNUSED_PAD src0_sel:BYTE_0 src1_sel:DWORD
	v_lshrrev_b32_e32 v44, 8, v23
	v_cndmask_b32_e32 v41, 5, v41, vcc_lo
	v_cmp_ne_u32_e32 vcc_lo, 5, v25
	v_lshrrev_b32_e32 v46, 16, v24
	v_lshlrev_b16 v41, 8, v41
	v_cndmask_b32_e32 v44, 5, v44, vcc_lo
	v_cmp_ne_u32_e32 vcc_lo, 7, v25
	v_lshlrev_b16 v44, 8, v44
	v_cndmask_b32_e32 v45, 5, v45, vcc_lo
	v_cmp_ne_u32_e32 vcc_lo, 4, v25
	;; [unrolled: 3-line block ×3, first 2 shown]
	v_or_b32_sdwa v44, v48, v44 dst_sel:DWORD dst_unused:UNUSED_PAD src0_sel:BYTE_0 src1_sel:DWORD
	v_cndmask_b32_e32 v47, 5, v47, vcc_lo
	v_cmp_ne_u32_e32 vcc_lo, 10, v25
	v_or_b32_sdwa v45, v47, v45 dst_sel:WORD_1 dst_unused:UNUSED_PAD src0_sel:BYTE_0 src1_sel:DWORD
	v_cndmask_b32_e32 v46, 5, v46, vcc_lo
	v_bfe_u32 v47, v18, 5, 1
	v_cmp_eq_u32_e32 vcc_lo, 0, v40
	v_or_b32_sdwa v40, v44, v45 dst_sel:DWORD dst_unused:UNUSED_PAD src0_sel:WORD_0 src1_sel:DWORD
	v_add_nc_u32_e32 v25, v25, v47
	v_cndmask_b32_e32 v21, v26, v21, vcc_lo
	v_or_b32_sdwa v26, v46, v41 dst_sel:WORD_1 dst_unused:UNUSED_PAD src0_sel:BYTE_0 src1_sel:DWORD
	v_cndmask_b32_e32 v23, v40, v23, vcc_lo
	v_cndmask_b32_e32 v19, v28, v19, vcc_lo
	v_cmp_ne_u32_e64 s4, 1, v25
	v_lshrrev_b32_e32 v41, 8, v21
	v_lshrrev_b32_e32 v42, 24, v21
	v_or_b32_sdwa v26, v43, v26 dst_sel:DWORD dst_unused:UNUSED_PAD src0_sel:WORD_0 src1_sel:DWORD
	v_cndmask_b32_e32 v20, v29, v20, vcc_lo
	v_cndmask_b32_e32 v22, v27, v22, vcc_lo
	v_cndmask_b32_e64 v40, 6, v41, s4
	v_cmp_ne_u32_e64 s4, 3, v25
	v_cndmask_b32_e32 v24, v26, v24, vcc_lo
	v_lshrrev_b32_e32 v27, 8, v19
	v_cmp_ne_u32_e32 vcc_lo, 21, v25
	v_lshlrev_b16 v40, 8, v40
	v_cndmask_b32_e64 v41, 6, v42, s4
	v_cmp_ne_u32_e64 s4, 0, v25
	v_lshrrev_b32_e32 v42, 16, v21
	v_cndmask_b32_e32 v27, 6, v27, vcc_lo
	v_cmp_ne_u32_e32 vcc_lo, 23, v25
	v_lshlrev_b16 v41, 8, v41
	v_cndmask_b32_e64 v43, 6, v21, s4
	v_cmp_ne_u32_e64 s4, 2, v25
	v_and_b32_e32 v29, 64, v18
	v_lshlrev_b16 v27, 8, v27
	v_lshrrev_b32_e32 v44, 24, v20
	v_or_b32_sdwa v26, v43, v40 dst_sel:DWORD dst_unused:UNUSED_PAD src0_sel:BYTE_0 src1_sel:DWORD
	v_cndmask_b32_e64 v42, 6, v42, s4
	v_lshrrev_b32_e32 v40, 24, v19
	v_cmp_ne_u32_e64 s4, 17, v25
	v_lshrrev_b32_e32 v43, 16, v22
	v_lshrrev_b32_e32 v47, 16, v24
	v_or_b32_sdwa v28, v42, v41 dst_sel:WORD_1 dst_unused:UNUSED_PAD src0_sel:BYTE_0 src1_sel:DWORD
	v_lshrrev_b32_e32 v42, 8, v20
	v_lshrrev_b32_e32 v48, 8, v23
	;; [unrolled: 1-line block ×4, first 2 shown]
	v_or_b32_sdwa v26, v26, v28 dst_sel:DWORD dst_unused:UNUSED_PAD src0_sel:WORD_0 src1_sel:DWORD
	v_cndmask_b32_e32 v28, 6, v40, vcc_lo
	v_cmp_ne_u32_e32 vcc_lo, 20, v25
	v_lshrrev_b32_e32 v40, 16, v19
	v_lshlrev_b16 v28, 8, v28
	v_cndmask_b32_e32 v41, 6, v19, vcc_lo
	v_cmp_ne_u32_e32 vcc_lo, 22, v25
	v_or_b32_sdwa v27, v41, v27 dst_sel:DWORD dst_unused:UNUSED_PAD src0_sel:BYTE_0 src1_sel:DWORD
	v_cndmask_b32_e32 v40, 6, v40, vcc_lo
	v_cmp_eq_u32_e32 vcc_lo, 0, v29
	v_lshrrev_b32_e32 v29, 8, v22
	v_lshrrev_b32_e32 v41, 24, v22
	v_or_b32_sdwa v28, v40, v28 dst_sel:WORD_1 dst_unused:UNUSED_PAD src0_sel:BYTE_0 src1_sel:DWORD
	v_cndmask_b32_e32 v21, v26, v21, vcc_lo
	v_cndmask_b32_e64 v29, 6, v29, s4
	v_cmp_ne_u32_e64 s4, 19, v25
	v_or_b32_sdwa v27, v27, v28 dst_sel:DWORD dst_unused:UNUSED_PAD src0_sel:WORD_0 src1_sel:DWORD
	v_lshrrev_b32_e32 v26, 8, v21
	v_lshlrev_b16 v29, 8, v29
	v_cndmask_b32_e64 v40, 6, v41, s4
	v_cmp_ne_u32_e64 s4, 16, v25
	v_cndmask_b32_e32 v19, v27, v19, vcc_lo
	v_lshlrev_b16 v40, 8, v40
	v_cndmask_b32_e64 v41, 6, v22, s4
	v_cmp_ne_u32_e64 s4, 13, v25
	v_or_b32_sdwa v29, v41, v29 dst_sel:DWORD dst_unused:UNUSED_PAD src0_sel:BYTE_0 src1_sel:DWORD
	v_cndmask_b32_e64 v42, 6, v42, s4
	v_cmp_ne_u32_e64 s4, 18, v25
	v_lshlrev_b16 v42, 8, v42
	v_cndmask_b32_e64 v43, 6, v43, s4
	v_cmp_ne_u32_e64 s4, 12, v25
	v_or_b32_sdwa v40, v43, v40 dst_sel:WORD_1 dst_unused:UNUSED_PAD src0_sel:BYTE_0 src1_sel:DWORD
	v_cndmask_b32_e64 v45, 6, v20, s4
	v_cmp_ne_u32_e64 s4, 15, v25
	v_or_b32_sdwa v28, v29, v40 dst_sel:DWORD dst_unused:UNUSED_PAD src0_sel:WORD_0 src1_sel:DWORD
	v_or_b32_sdwa v41, v45, v42 dst_sel:DWORD dst_unused:UNUSED_PAD src0_sel:BYTE_0 src1_sel:DWORD
	v_cndmask_b32_e64 v44, 6, v44, s4
	v_lshrrev_b32_e32 v42, 8, v24
	v_cmp_ne_u32_e64 s4, 9, v25
	v_lshrrev_b32_e32 v45, 16, v20
	v_cndmask_b32_e32 v22, v28, v22, vcc_lo
	v_lshlrev_b16 v43, 8, v44
	v_lshrrev_b32_e32 v44, 24, v24
	v_cndmask_b32_e64 v42, 6, v42, s4
	v_cmp_ne_u32_e64 s4, 11, v25
	v_lshrrev_b32_e32 v28, 24, v21
	v_lshlrev_b16 v42, 8, v42
	v_cndmask_b32_e64 v44, 6, v44, s4
	v_cmp_ne_u32_e64 s4, 8, v25
	v_lshlrev_b16 v44, 8, v44
	v_cndmask_b32_e64 v46, 6, v24, s4
	v_cmp_ne_u32_e64 s4, 10, v25
	v_or_b32_sdwa v42, v46, v42 dst_sel:DWORD dst_unused:UNUSED_PAD src0_sel:BYTE_0 src1_sel:DWORD
	v_cndmask_b32_e64 v47, 6, v47, s4
	v_cmp_ne_u32_e64 s4, 5, v25
	v_or_b32_sdwa v44, v47, v44 dst_sel:WORD_1 dst_unused:UNUSED_PAD src0_sel:BYTE_0 src1_sel:DWORD
	v_cndmask_b32_e64 v48, 6, v48, s4
	v_cmp_ne_u32_e64 s4, 7, v25
	v_or_b32_sdwa v40, v42, v44 dst_sel:DWORD dst_unused:UNUSED_PAD src0_sel:WORD_0 src1_sel:DWORD
	v_lshlrev_b16 v48, 8, v48
	v_cndmask_b32_e64 v49, 6, v49, s4
	v_cmp_ne_u32_e64 s4, 4, v25
	v_bfe_u32 v42, v18, 6, 1
	v_cndmask_b32_e32 v24, v40, v24, vcc_lo
	v_and_b32_e32 v40, 0x80, v18
	v_lshlrev_b16 v49, 8, v49
	v_cndmask_b32_e64 v51, 6, v23, s4
	v_cmp_ne_u32_e64 s4, 6, v25
	v_lshrrev_b32_e32 v44, 8, v24
	v_or_b32_sdwa v46, v51, v48 dst_sel:DWORD dst_unused:UNUSED_PAD src0_sel:BYTE_0 src1_sel:DWORD
	v_cndmask_b32_e64 v50, 6, v50, s4
	v_cmp_ne_u32_e64 s4, 14, v25
	v_add_nc_u32_e32 v25, v25, v42
	v_or_b32_sdwa v48, v50, v49 dst_sel:WORD_1 dst_unused:UNUSED_PAD src0_sel:BYTE_0 src1_sel:DWORD
	v_cndmask_b32_e64 v45, 6, v45, s4
	v_or_b32_sdwa v29, v46, v48 dst_sel:DWORD dst_unused:UNUSED_PAD src0_sel:WORD_0 src1_sel:DWORD
	v_or_b32_sdwa v43, v45, v43 dst_sel:WORD_1 dst_unused:UNUSED_PAD src0_sel:BYTE_0 src1_sel:DWORD
	v_cndmask_b32_e32 v23, v29, v23, vcc_lo
	v_or_b32_sdwa v41, v41, v43 dst_sel:DWORD dst_unused:UNUSED_PAD src0_sel:WORD_0 src1_sel:DWORD
	v_lshrrev_b32_e32 v47, 16, v23
	v_cndmask_b32_e32 v20, v41, v20, vcc_lo
	v_cmp_ne_u32_e32 vcc_lo, 1, v25
	v_lshrrev_b32_e32 v41, 8, v19
	v_lshrrev_b32_e32 v45, 16, v20
	v_cndmask_b32_e32 v26, 7, v26, vcc_lo
	v_cmp_ne_u32_e32 vcc_lo, 3, v25
	v_lshlrev_b16 v26, 8, v26
	v_cndmask_b32_e32 v27, 7, v28, vcc_lo
	v_cmp_ne_u32_e32 vcc_lo, 0, v25
	v_lshrrev_b32_e32 v28, 16, v21
	v_lshlrev_b16 v27, 8, v27
	v_cndmask_b32_e32 v29, 7, v21, vcc_lo
	v_cmp_ne_u32_e32 vcc_lo, 2, v25
	v_or_b32_sdwa v26, v29, v26 dst_sel:DWORD dst_unused:UNUSED_PAD src0_sel:BYTE_0 src1_sel:DWORD
	v_cndmask_b32_e32 v28, 7, v28, vcc_lo
	v_cmp_ne_u32_e32 vcc_lo, 21, v25
	v_lshrrev_b32_e32 v29, 24, v19
	v_or_b32_sdwa v27, v28, v27 dst_sel:WORD_1 dst_unused:UNUSED_PAD src0_sel:BYTE_0 src1_sel:DWORD
	v_cndmask_b32_e32 v28, 7, v41, vcc_lo
	v_cmp_ne_u32_e32 vcc_lo, 23, v25
	v_lshrrev_b32_e32 v41, 16, v19
	v_or_b32_sdwa v26, v26, v27 dst_sel:DWORD dst_unused:UNUSED_PAD src0_sel:WORD_0 src1_sel:DWORD
	v_lshlrev_b16 v28, 8, v28
	v_cndmask_b32_e32 v29, 7, v29, vcc_lo
	v_cmp_ne_u32_e32 vcc_lo, 20, v25
	v_lshrrev_b32_e32 v27, 8, v22
	v_lshlrev_b16 v29, 8, v29
	v_cndmask_b32_e32 v42, 7, v19, vcc_lo
	v_cmp_ne_u32_e32 vcc_lo, 22, v25
	v_or_b32_sdwa v28, v42, v28 dst_sel:DWORD dst_unused:UNUSED_PAD src0_sel:BYTE_0 src1_sel:DWORD
	v_cndmask_b32_e32 v41, 7, v41, vcc_lo
	v_cmp_ne_u32_e32 vcc_lo, 17, v25
	v_lshrrev_b32_e32 v42, 24, v22
	v_or_b32_sdwa v29, v41, v29 dst_sel:WORD_1 dst_unused:UNUSED_PAD src0_sel:BYTE_0 src1_sel:DWORD
	v_cndmask_b32_e32 v27, 7, v27, vcc_lo
	v_cmp_ne_u32_e32 vcc_lo, 19, v25
	v_or_b32_sdwa v28, v28, v29 dst_sel:DWORD dst_unused:UNUSED_PAD src0_sel:WORD_0 src1_sel:DWORD
	v_lshlrev_b16 v27, 8, v27
	v_cndmask_b32_e32 v41, 7, v42, vcc_lo
	v_cmp_ne_u32_e32 vcc_lo, 16, v25
	v_lshrrev_b32_e32 v42, 16, v22
	v_lshrrev_b32_e32 v29, 8, v20
	v_lshlrev_b16 v41, 8, v41
	v_cndmask_b32_e32 v43, 7, v22, vcc_lo
	v_cmp_ne_u32_e32 vcc_lo, 18, v25
	v_or_b32_sdwa v27, v43, v27 dst_sel:DWORD dst_unused:UNUSED_PAD src0_sel:BYTE_0 src1_sel:DWORD
	v_cndmask_b32_e32 v42, 7, v42, vcc_lo
	v_cmp_ne_u32_e32 vcc_lo, 13, v25
	v_lshrrev_b32_e32 v43, 24, v20
	v_or_b32_sdwa v41, v42, v41 dst_sel:WORD_1 dst_unused:UNUSED_PAD src0_sel:BYTE_0 src1_sel:DWORD
	v_cndmask_b32_e32 v29, 7, v29, vcc_lo
	v_cmp_ne_u32_e32 vcc_lo, 15, v25
	v_or_b32_sdwa v27, v27, v41 dst_sel:DWORD dst_unused:UNUSED_PAD src0_sel:WORD_0 src1_sel:DWORD
	v_lshlrev_b16 v29, 8, v29
	v_cndmask_b32_e32 v42, 7, v43, vcc_lo
	v_cmp_ne_u32_e32 vcc_lo, 12, v25
	v_lshrrev_b32_e32 v41, 24, v24
	v_lshlrev_b16 v42, 8, v42
	v_cndmask_b32_e32 v43, 7, v20, vcc_lo
	v_cmp_ne_u32_e32 vcc_lo, 9, v25
	v_or_b32_sdwa v29, v43, v29 dst_sel:DWORD dst_unused:UNUSED_PAD src0_sel:BYTE_0 src1_sel:DWORD
	v_cndmask_b32_e32 v44, 7, v44, vcc_lo
	v_cmp_ne_u32_e32 vcc_lo, 14, v25
	v_lshlrev_b16 v44, 8, v44
	v_cndmask_b32_e32 v45, 7, v45, vcc_lo
	v_cmp_ne_u32_e32 vcc_lo, 8, v25
	v_or_b32_sdwa v42, v45, v42 dst_sel:WORD_1 dst_unused:UNUSED_PAD src0_sel:BYTE_0 src1_sel:DWORD
	v_cndmask_b32_e32 v46, 7, v24, vcc_lo
	v_cmp_ne_u32_e32 vcc_lo, 11, v25
	v_lshrrev_b32_e32 v45, 24, v23
	v_or_b32_sdwa v29, v29, v42 dst_sel:DWORD dst_unused:UNUSED_PAD src0_sel:WORD_0 src1_sel:DWORD
	v_or_b32_sdwa v43, v46, v44 dst_sel:DWORD dst_unused:UNUSED_PAD src0_sel:BYTE_0 src1_sel:DWORD
	v_lshrrev_b32_e32 v44, 8, v23
	v_cndmask_b32_e32 v41, 7, v41, vcc_lo
	v_cmp_ne_u32_e32 vcc_lo, 5, v25
	v_lshrrev_b32_e32 v46, 16, v24
	v_lshlrev_b16 v41, 8, v41
	v_cndmask_b32_e32 v44, 7, v44, vcc_lo
	v_cmp_ne_u32_e32 vcc_lo, 7, v25
	v_lshlrev_b16 v44, 8, v44
	v_cndmask_b32_e32 v45, 7, v45, vcc_lo
	v_cmp_ne_u32_e32 vcc_lo, 4, v25
	;; [unrolled: 3-line block ×3, first 2 shown]
	v_or_b32_sdwa v44, v48, v44 dst_sel:DWORD dst_unused:UNUSED_PAD src0_sel:BYTE_0 src1_sel:DWORD
	v_cndmask_b32_e32 v47, 7, v47, vcc_lo
	v_cmp_ne_u32_e32 vcc_lo, 10, v25
	v_or_b32_sdwa v45, v47, v45 dst_sel:WORD_1 dst_unused:UNUSED_PAD src0_sel:BYTE_0 src1_sel:DWORD
	v_cndmask_b32_e32 v46, 7, v46, vcc_lo
	v_bfe_u32 v47, v18, 7, 1
	v_cmp_eq_u32_e32 vcc_lo, 0, v40
	v_or_b32_sdwa v40, v44, v45 dst_sel:DWORD dst_unused:UNUSED_PAD src0_sel:WORD_0 src1_sel:DWORD
	v_add_nc_u32_e32 v25, v25, v47
	v_cndmask_b32_e32 v21, v26, v21, vcc_lo
	v_or_b32_sdwa v26, v46, v41 dst_sel:WORD_1 dst_unused:UNUSED_PAD src0_sel:BYTE_0 src1_sel:DWORD
	v_cndmask_b32_e32 v23, v40, v23, vcc_lo
	v_cndmask_b32_e32 v19, v28, v19, vcc_lo
	v_cmp_ne_u32_e64 s4, 1, v25
	v_lshrrev_b32_e32 v41, 8, v21
	v_lshrrev_b32_e32 v42, 24, v21
	v_or_b32_sdwa v26, v43, v26 dst_sel:DWORD dst_unused:UNUSED_PAD src0_sel:WORD_0 src1_sel:DWORD
	v_cndmask_b32_e32 v20, v29, v20, vcc_lo
	v_cndmask_b32_e32 v22, v27, v22, vcc_lo
	v_cndmask_b32_e64 v40, 8, v41, s4
	v_cmp_ne_u32_e64 s4, 3, v25
	v_cndmask_b32_e32 v24, v26, v24, vcc_lo
	v_lshrrev_b32_e32 v27, 8, v19
	v_cmp_ne_u32_e32 vcc_lo, 21, v25
	v_lshlrev_b16 v40, 8, v40
	v_cndmask_b32_e64 v41, 8, v42, s4
	v_cmp_ne_u32_e64 s4, 0, v25
	v_lshrrev_b32_e32 v42, 16, v21
	v_cndmask_b32_e32 v27, 8, v27, vcc_lo
	v_cmp_ne_u32_e32 vcc_lo, 23, v25
	v_lshlrev_b16 v41, 8, v41
	v_cndmask_b32_e64 v43, 8, v21, s4
	v_cmp_ne_u32_e64 s4, 2, v25
	v_and_b32_e32 v29, 0x100, v18
	v_lshlrev_b16 v27, 8, v27
	v_lshrrev_b32_e32 v44, 24, v20
	v_or_b32_sdwa v26, v43, v40 dst_sel:DWORD dst_unused:UNUSED_PAD src0_sel:BYTE_0 src1_sel:DWORD
	v_cndmask_b32_e64 v42, 8, v42, s4
	v_lshrrev_b32_e32 v40, 24, v19
	v_cmp_ne_u32_e64 s4, 17, v25
	v_lshrrev_b32_e32 v43, 16, v22
	v_lshrrev_b32_e32 v47, 16, v24
	v_or_b32_sdwa v28, v42, v41 dst_sel:WORD_1 dst_unused:UNUSED_PAD src0_sel:BYTE_0 src1_sel:DWORD
	v_lshrrev_b32_e32 v42, 8, v20
	v_lshrrev_b32_e32 v48, 8, v23
	;; [unrolled: 1-line block ×4, first 2 shown]
	v_or_b32_sdwa v26, v26, v28 dst_sel:DWORD dst_unused:UNUSED_PAD src0_sel:WORD_0 src1_sel:DWORD
	v_cndmask_b32_e32 v28, 8, v40, vcc_lo
	v_cmp_ne_u32_e32 vcc_lo, 20, v25
	v_lshrrev_b32_e32 v40, 16, v19
	v_lshlrev_b16 v28, 8, v28
	v_cndmask_b32_e32 v41, 8, v19, vcc_lo
	v_cmp_ne_u32_e32 vcc_lo, 22, v25
	v_or_b32_sdwa v27, v41, v27 dst_sel:DWORD dst_unused:UNUSED_PAD src0_sel:BYTE_0 src1_sel:DWORD
	v_cndmask_b32_e32 v40, 8, v40, vcc_lo
	v_cmp_eq_u32_e32 vcc_lo, 0, v29
	v_lshrrev_b32_e32 v29, 8, v22
	v_lshrrev_b32_e32 v41, 24, v22
	v_or_b32_sdwa v28, v40, v28 dst_sel:WORD_1 dst_unused:UNUSED_PAD src0_sel:BYTE_0 src1_sel:DWORD
	v_cndmask_b32_e32 v21, v26, v21, vcc_lo
	v_cndmask_b32_e64 v29, 8, v29, s4
	v_cmp_ne_u32_e64 s4, 19, v25
	v_or_b32_sdwa v27, v27, v28 dst_sel:DWORD dst_unused:UNUSED_PAD src0_sel:WORD_0 src1_sel:DWORD
	v_lshrrev_b32_e32 v26, 8, v21
	v_lshlrev_b16 v29, 8, v29
	v_cndmask_b32_e64 v40, 8, v41, s4
	v_cmp_ne_u32_e64 s4, 16, v25
	v_cndmask_b32_e32 v19, v27, v19, vcc_lo
	v_lshlrev_b16 v40, 8, v40
	v_cndmask_b32_e64 v41, 8, v22, s4
	v_cmp_ne_u32_e64 s4, 13, v25
	v_or_b32_sdwa v29, v41, v29 dst_sel:DWORD dst_unused:UNUSED_PAD src0_sel:BYTE_0 src1_sel:DWORD
	v_cndmask_b32_e64 v42, 8, v42, s4
	v_cmp_ne_u32_e64 s4, 18, v25
	v_lshlrev_b16 v42, 8, v42
	v_cndmask_b32_e64 v43, 8, v43, s4
	v_cmp_ne_u32_e64 s4, 12, v25
	v_or_b32_sdwa v40, v43, v40 dst_sel:WORD_1 dst_unused:UNUSED_PAD src0_sel:BYTE_0 src1_sel:DWORD
	v_cndmask_b32_e64 v45, 8, v20, s4
	v_cmp_ne_u32_e64 s4, 15, v25
	v_or_b32_sdwa v28, v29, v40 dst_sel:DWORD dst_unused:UNUSED_PAD src0_sel:WORD_0 src1_sel:DWORD
	v_or_b32_sdwa v41, v45, v42 dst_sel:DWORD dst_unused:UNUSED_PAD src0_sel:BYTE_0 src1_sel:DWORD
	v_cndmask_b32_e64 v44, 8, v44, s4
	v_lshrrev_b32_e32 v42, 8, v24
	v_cmp_ne_u32_e64 s4, 9, v25
	v_lshrrev_b32_e32 v45, 16, v20
	v_cndmask_b32_e32 v22, v28, v22, vcc_lo
	v_lshlrev_b16 v43, 8, v44
	v_lshrrev_b32_e32 v44, 24, v24
	v_cndmask_b32_e64 v42, 8, v42, s4
	v_cmp_ne_u32_e64 s4, 11, v25
	v_lshrrev_b32_e32 v28, 24, v21
	v_lshlrev_b16 v42, 8, v42
	v_cndmask_b32_e64 v44, 8, v44, s4
	v_cmp_ne_u32_e64 s4, 8, v25
	v_lshlrev_b16 v44, 8, v44
	v_cndmask_b32_e64 v46, 8, v24, s4
	v_cmp_ne_u32_e64 s4, 10, v25
	v_or_b32_sdwa v42, v46, v42 dst_sel:DWORD dst_unused:UNUSED_PAD src0_sel:BYTE_0 src1_sel:DWORD
	v_cndmask_b32_e64 v47, 8, v47, s4
	v_cmp_ne_u32_e64 s4, 5, v25
	v_or_b32_sdwa v44, v47, v44 dst_sel:WORD_1 dst_unused:UNUSED_PAD src0_sel:BYTE_0 src1_sel:DWORD
	v_cndmask_b32_e64 v48, 8, v48, s4
	v_cmp_ne_u32_e64 s4, 7, v25
	v_or_b32_sdwa v40, v42, v44 dst_sel:DWORD dst_unused:UNUSED_PAD src0_sel:WORD_0 src1_sel:DWORD
	v_lshlrev_b16 v48, 8, v48
	v_cndmask_b32_e64 v49, 8, v49, s4
	v_cmp_ne_u32_e64 s4, 4, v25
	v_bfe_u32 v42, v18, 8, 1
	v_cndmask_b32_e32 v24, v40, v24, vcc_lo
	v_and_b32_e32 v40, 0x200, v18
	v_lshlrev_b16 v49, 8, v49
	v_cndmask_b32_e64 v51, 8, v23, s4
	v_cmp_ne_u32_e64 s4, 6, v25
	v_lshrrev_b32_e32 v44, 8, v24
	v_or_b32_sdwa v46, v51, v48 dst_sel:DWORD dst_unused:UNUSED_PAD src0_sel:BYTE_0 src1_sel:DWORD
	v_cndmask_b32_e64 v50, 8, v50, s4
	v_cmp_ne_u32_e64 s4, 14, v25
	v_add_nc_u32_e32 v25, v25, v42
	v_or_b32_sdwa v48, v50, v49 dst_sel:WORD_1 dst_unused:UNUSED_PAD src0_sel:BYTE_0 src1_sel:DWORD
	v_cndmask_b32_e64 v45, 8, v45, s4
	v_or_b32_sdwa v29, v46, v48 dst_sel:DWORD dst_unused:UNUSED_PAD src0_sel:WORD_0 src1_sel:DWORD
	v_or_b32_sdwa v43, v45, v43 dst_sel:WORD_1 dst_unused:UNUSED_PAD src0_sel:BYTE_0 src1_sel:DWORD
	v_cndmask_b32_e32 v23, v29, v23, vcc_lo
	v_or_b32_sdwa v41, v41, v43 dst_sel:DWORD dst_unused:UNUSED_PAD src0_sel:WORD_0 src1_sel:DWORD
	v_lshrrev_b32_e32 v47, 16, v23
	v_cndmask_b32_e32 v20, v41, v20, vcc_lo
	v_cmp_ne_u32_e32 vcc_lo, 1, v25
	v_lshrrev_b32_e32 v41, 8, v19
	v_lshrrev_b32_e32 v45, 16, v20
	v_cndmask_b32_e32 v26, 9, v26, vcc_lo
	v_cmp_ne_u32_e32 vcc_lo, 3, v25
	v_lshlrev_b16 v26, 8, v26
	v_cndmask_b32_e32 v27, 9, v28, vcc_lo
	v_cmp_ne_u32_e32 vcc_lo, 0, v25
	v_lshrrev_b32_e32 v28, 16, v21
	v_lshlrev_b16 v27, 8, v27
	v_cndmask_b32_e32 v29, 9, v21, vcc_lo
	v_cmp_ne_u32_e32 vcc_lo, 2, v25
	v_or_b32_sdwa v26, v29, v26 dst_sel:DWORD dst_unused:UNUSED_PAD src0_sel:BYTE_0 src1_sel:DWORD
	v_cndmask_b32_e32 v28, 9, v28, vcc_lo
	v_cmp_ne_u32_e32 vcc_lo, 21, v25
	v_lshrrev_b32_e32 v29, 24, v19
	v_or_b32_sdwa v27, v28, v27 dst_sel:WORD_1 dst_unused:UNUSED_PAD src0_sel:BYTE_0 src1_sel:DWORD
	v_cndmask_b32_e32 v28, 9, v41, vcc_lo
	v_cmp_ne_u32_e32 vcc_lo, 23, v25
	v_lshrrev_b32_e32 v41, 16, v19
	v_or_b32_sdwa v26, v26, v27 dst_sel:DWORD dst_unused:UNUSED_PAD src0_sel:WORD_0 src1_sel:DWORD
	v_lshlrev_b16 v28, 8, v28
	v_cndmask_b32_e32 v29, 9, v29, vcc_lo
	v_cmp_ne_u32_e32 vcc_lo, 20, v25
	v_lshrrev_b32_e32 v27, 8, v22
	v_lshlrev_b16 v29, 8, v29
	v_cndmask_b32_e32 v42, 9, v19, vcc_lo
	v_cmp_ne_u32_e32 vcc_lo, 22, v25
	v_or_b32_sdwa v28, v42, v28 dst_sel:DWORD dst_unused:UNUSED_PAD src0_sel:BYTE_0 src1_sel:DWORD
	v_cndmask_b32_e32 v41, 9, v41, vcc_lo
	v_cmp_ne_u32_e32 vcc_lo, 17, v25
	v_lshrrev_b32_e32 v42, 24, v22
	v_or_b32_sdwa v29, v41, v29 dst_sel:WORD_1 dst_unused:UNUSED_PAD src0_sel:BYTE_0 src1_sel:DWORD
	v_cndmask_b32_e32 v27, 9, v27, vcc_lo
	v_cmp_ne_u32_e32 vcc_lo, 19, v25
	v_or_b32_sdwa v28, v28, v29 dst_sel:DWORD dst_unused:UNUSED_PAD src0_sel:WORD_0 src1_sel:DWORD
	v_lshlrev_b16 v27, 8, v27
	v_cndmask_b32_e32 v41, 9, v42, vcc_lo
	v_cmp_ne_u32_e32 vcc_lo, 16, v25
	v_lshrrev_b32_e32 v42, 16, v22
	v_lshrrev_b32_e32 v29, 8, v20
	v_lshlrev_b16 v41, 8, v41
	v_cndmask_b32_e32 v43, 9, v22, vcc_lo
	v_cmp_ne_u32_e32 vcc_lo, 18, v25
	v_or_b32_sdwa v27, v43, v27 dst_sel:DWORD dst_unused:UNUSED_PAD src0_sel:BYTE_0 src1_sel:DWORD
	v_cndmask_b32_e32 v42, 9, v42, vcc_lo
	v_cmp_ne_u32_e32 vcc_lo, 13, v25
	v_lshrrev_b32_e32 v43, 24, v20
	v_or_b32_sdwa v41, v42, v41 dst_sel:WORD_1 dst_unused:UNUSED_PAD src0_sel:BYTE_0 src1_sel:DWORD
	v_cndmask_b32_e32 v29, 9, v29, vcc_lo
	v_cmp_ne_u32_e32 vcc_lo, 15, v25
	v_or_b32_sdwa v27, v27, v41 dst_sel:DWORD dst_unused:UNUSED_PAD src0_sel:WORD_0 src1_sel:DWORD
	v_lshlrev_b16 v29, 8, v29
	v_cndmask_b32_e32 v42, 9, v43, vcc_lo
	v_cmp_ne_u32_e32 vcc_lo, 12, v25
	v_lshrrev_b32_e32 v41, 24, v24
	v_lshlrev_b16 v42, 8, v42
	v_cndmask_b32_e32 v43, 9, v20, vcc_lo
	v_cmp_ne_u32_e32 vcc_lo, 9, v25
	v_or_b32_sdwa v29, v43, v29 dst_sel:DWORD dst_unused:UNUSED_PAD src0_sel:BYTE_0 src1_sel:DWORD
	v_cndmask_b32_e32 v44, 9, v44, vcc_lo
	v_cmp_ne_u32_e32 vcc_lo, 14, v25
	v_lshlrev_b16 v44, 8, v44
	v_cndmask_b32_e32 v45, 9, v45, vcc_lo
	v_cmp_ne_u32_e32 vcc_lo, 8, v25
	v_or_b32_sdwa v42, v45, v42 dst_sel:WORD_1 dst_unused:UNUSED_PAD src0_sel:BYTE_0 src1_sel:DWORD
	v_cndmask_b32_e32 v46, 9, v24, vcc_lo
	v_cmp_ne_u32_e32 vcc_lo, 11, v25
	v_lshrrev_b32_e32 v45, 24, v23
	v_or_b32_sdwa v29, v29, v42 dst_sel:DWORD dst_unused:UNUSED_PAD src0_sel:WORD_0 src1_sel:DWORD
	v_or_b32_sdwa v43, v46, v44 dst_sel:DWORD dst_unused:UNUSED_PAD src0_sel:BYTE_0 src1_sel:DWORD
	v_lshrrev_b32_e32 v44, 8, v23
	v_cndmask_b32_e32 v41, 9, v41, vcc_lo
	v_cmp_ne_u32_e32 vcc_lo, 5, v25
	v_lshrrev_b32_e32 v46, 16, v24
	v_lshlrev_b16 v41, 8, v41
	v_cndmask_b32_e32 v44, 9, v44, vcc_lo
	v_cmp_ne_u32_e32 vcc_lo, 7, v25
	v_lshlrev_b16 v44, 8, v44
	v_cndmask_b32_e32 v45, 9, v45, vcc_lo
	v_cmp_ne_u32_e32 vcc_lo, 4, v25
	;; [unrolled: 3-line block ×3, first 2 shown]
	v_or_b32_sdwa v44, v48, v44 dst_sel:DWORD dst_unused:UNUSED_PAD src0_sel:BYTE_0 src1_sel:DWORD
	v_cndmask_b32_e32 v47, 9, v47, vcc_lo
	v_cmp_ne_u32_e32 vcc_lo, 10, v25
	v_or_b32_sdwa v45, v47, v45 dst_sel:WORD_1 dst_unused:UNUSED_PAD src0_sel:BYTE_0 src1_sel:DWORD
	v_cndmask_b32_e32 v46, 9, v46, vcc_lo
	v_bfe_u32 v47, v18, 9, 1
	v_cmp_eq_u32_e32 vcc_lo, 0, v40
	v_or_b32_sdwa v40, v44, v45 dst_sel:DWORD dst_unused:UNUSED_PAD src0_sel:WORD_0 src1_sel:DWORD
	v_add_nc_u32_e32 v25, v25, v47
	v_cndmask_b32_e32 v21, v26, v21, vcc_lo
	v_or_b32_sdwa v26, v46, v41 dst_sel:WORD_1 dst_unused:UNUSED_PAD src0_sel:BYTE_0 src1_sel:DWORD
	v_cndmask_b32_e32 v23, v40, v23, vcc_lo
	v_cndmask_b32_e32 v19, v28, v19, vcc_lo
	v_cmp_ne_u32_e64 s4, 1, v25
	v_lshrrev_b32_e32 v41, 8, v21
	v_lshrrev_b32_e32 v42, 24, v21
	v_or_b32_sdwa v26, v43, v26 dst_sel:DWORD dst_unused:UNUSED_PAD src0_sel:WORD_0 src1_sel:DWORD
	v_cndmask_b32_e32 v20, v29, v20, vcc_lo
	v_cndmask_b32_e32 v22, v27, v22, vcc_lo
	v_cndmask_b32_e64 v40, 10, v41, s4
	v_cmp_ne_u32_e64 s4, 3, v25
	v_cndmask_b32_e32 v24, v26, v24, vcc_lo
	v_lshrrev_b32_e32 v27, 8, v19
	v_cmp_ne_u32_e32 vcc_lo, 21, v25
	v_lshlrev_b16 v40, 8, v40
	v_cndmask_b32_e64 v41, 10, v42, s4
	v_cmp_ne_u32_e64 s4, 0, v25
	v_lshrrev_b32_e32 v42, 16, v21
	v_cndmask_b32_e32 v27, 10, v27, vcc_lo
	v_cmp_ne_u32_e32 vcc_lo, 23, v25
	v_lshlrev_b16 v41, 8, v41
	v_cndmask_b32_e64 v43, 10, v21, s4
	v_cmp_ne_u32_e64 s4, 2, v25
	v_and_b32_e32 v29, 0x400, v18
	v_lshlrev_b16 v27, 8, v27
	v_lshrrev_b32_e32 v44, 24, v20
	v_or_b32_sdwa v26, v43, v40 dst_sel:DWORD dst_unused:UNUSED_PAD src0_sel:BYTE_0 src1_sel:DWORD
	v_cndmask_b32_e64 v42, 10, v42, s4
	v_lshrrev_b32_e32 v40, 24, v19
	v_cmp_ne_u32_e64 s4, 17, v25
	v_lshrrev_b32_e32 v43, 16, v22
	v_lshrrev_b32_e32 v47, 16, v24
	v_or_b32_sdwa v28, v42, v41 dst_sel:WORD_1 dst_unused:UNUSED_PAD src0_sel:BYTE_0 src1_sel:DWORD
	v_lshrrev_b32_e32 v42, 8, v20
	v_lshrrev_b32_e32 v48, 8, v23
	;; [unrolled: 1-line block ×4, first 2 shown]
	v_or_b32_sdwa v26, v26, v28 dst_sel:DWORD dst_unused:UNUSED_PAD src0_sel:WORD_0 src1_sel:DWORD
	v_cndmask_b32_e32 v28, 10, v40, vcc_lo
	v_cmp_ne_u32_e32 vcc_lo, 20, v25
	v_lshrrev_b32_e32 v40, 16, v19
	v_lshlrev_b16 v28, 8, v28
	v_cndmask_b32_e32 v41, 10, v19, vcc_lo
	v_cmp_ne_u32_e32 vcc_lo, 22, v25
	v_or_b32_sdwa v27, v41, v27 dst_sel:DWORD dst_unused:UNUSED_PAD src0_sel:BYTE_0 src1_sel:DWORD
	v_cndmask_b32_e32 v40, 10, v40, vcc_lo
	v_cmp_eq_u32_e32 vcc_lo, 0, v29
	v_lshrrev_b32_e32 v29, 8, v22
	v_lshrrev_b32_e32 v41, 24, v22
	v_or_b32_sdwa v28, v40, v28 dst_sel:WORD_1 dst_unused:UNUSED_PAD src0_sel:BYTE_0 src1_sel:DWORD
	v_cndmask_b32_e32 v21, v26, v21, vcc_lo
	v_cndmask_b32_e64 v29, 10, v29, s4
	v_cmp_ne_u32_e64 s4, 19, v25
	v_or_b32_sdwa v27, v27, v28 dst_sel:DWORD dst_unused:UNUSED_PAD src0_sel:WORD_0 src1_sel:DWORD
	v_lshrrev_b32_e32 v26, 8, v21
	v_lshlrev_b16 v29, 8, v29
	v_cndmask_b32_e64 v40, 10, v41, s4
	v_cmp_ne_u32_e64 s4, 16, v25
	v_cndmask_b32_e32 v19, v27, v19, vcc_lo
	v_lshlrev_b16 v40, 8, v40
	v_cndmask_b32_e64 v41, 10, v22, s4
	v_cmp_ne_u32_e64 s4, 13, v25
	v_or_b32_sdwa v29, v41, v29 dst_sel:DWORD dst_unused:UNUSED_PAD src0_sel:BYTE_0 src1_sel:DWORD
	v_cndmask_b32_e64 v42, 10, v42, s4
	v_cmp_ne_u32_e64 s4, 18, v25
	v_lshlrev_b16 v42, 8, v42
	v_cndmask_b32_e64 v43, 10, v43, s4
	v_cmp_ne_u32_e64 s4, 12, v25
	v_or_b32_sdwa v40, v43, v40 dst_sel:WORD_1 dst_unused:UNUSED_PAD src0_sel:BYTE_0 src1_sel:DWORD
	v_cndmask_b32_e64 v45, 10, v20, s4
	v_cmp_ne_u32_e64 s4, 15, v25
	v_or_b32_sdwa v28, v29, v40 dst_sel:DWORD dst_unused:UNUSED_PAD src0_sel:WORD_0 src1_sel:DWORD
	v_or_b32_sdwa v41, v45, v42 dst_sel:DWORD dst_unused:UNUSED_PAD src0_sel:BYTE_0 src1_sel:DWORD
	v_cndmask_b32_e64 v44, 10, v44, s4
	v_lshrrev_b32_e32 v42, 8, v24
	v_cmp_ne_u32_e64 s4, 9, v25
	v_lshrrev_b32_e32 v45, 16, v20
	v_cndmask_b32_e32 v22, v28, v22, vcc_lo
	v_lshlrev_b16 v43, 8, v44
	v_lshrrev_b32_e32 v44, 24, v24
	v_cndmask_b32_e64 v42, 10, v42, s4
	v_cmp_ne_u32_e64 s4, 11, v25
	v_lshrrev_b32_e32 v28, 24, v21
	v_lshlrev_b16 v42, 8, v42
	v_cndmask_b32_e64 v44, 10, v44, s4
	v_cmp_ne_u32_e64 s4, 8, v25
	v_lshlrev_b16 v44, 8, v44
	v_cndmask_b32_e64 v46, 10, v24, s4
	v_cmp_ne_u32_e64 s4, 10, v25
	v_or_b32_sdwa v42, v46, v42 dst_sel:DWORD dst_unused:UNUSED_PAD src0_sel:BYTE_0 src1_sel:DWORD
	v_cndmask_b32_e64 v47, 10, v47, s4
	v_cmp_ne_u32_e64 s4, 5, v25
	v_or_b32_sdwa v44, v47, v44 dst_sel:WORD_1 dst_unused:UNUSED_PAD src0_sel:BYTE_0 src1_sel:DWORD
	v_cndmask_b32_e64 v48, 10, v48, s4
	v_cmp_ne_u32_e64 s4, 7, v25
	v_or_b32_sdwa v40, v42, v44 dst_sel:DWORD dst_unused:UNUSED_PAD src0_sel:WORD_0 src1_sel:DWORD
	v_lshlrev_b16 v48, 8, v48
	v_cndmask_b32_e64 v49, 10, v49, s4
	v_cmp_ne_u32_e64 s4, 4, v25
	v_bfe_u32 v42, v18, 10, 1
	v_cndmask_b32_e32 v24, v40, v24, vcc_lo
	v_and_b32_e32 v40, 0x800, v18
	v_lshlrev_b16 v49, 8, v49
	v_cndmask_b32_e64 v51, 10, v23, s4
	v_cmp_ne_u32_e64 s4, 6, v25
	v_lshrrev_b32_e32 v44, 8, v24
	v_or_b32_sdwa v46, v51, v48 dst_sel:DWORD dst_unused:UNUSED_PAD src0_sel:BYTE_0 src1_sel:DWORD
	v_cndmask_b32_e64 v50, 10, v50, s4
	v_cmp_ne_u32_e64 s4, 14, v25
	v_add_nc_u32_e32 v25, v25, v42
	v_or_b32_sdwa v48, v50, v49 dst_sel:WORD_1 dst_unused:UNUSED_PAD src0_sel:BYTE_0 src1_sel:DWORD
	v_cndmask_b32_e64 v45, 10, v45, s4
	v_or_b32_sdwa v29, v46, v48 dst_sel:DWORD dst_unused:UNUSED_PAD src0_sel:WORD_0 src1_sel:DWORD
	v_or_b32_sdwa v43, v45, v43 dst_sel:WORD_1 dst_unused:UNUSED_PAD src0_sel:BYTE_0 src1_sel:DWORD
	v_cndmask_b32_e32 v23, v29, v23, vcc_lo
	v_or_b32_sdwa v41, v41, v43 dst_sel:DWORD dst_unused:UNUSED_PAD src0_sel:WORD_0 src1_sel:DWORD
	v_lshrrev_b32_e32 v47, 16, v23
	v_cndmask_b32_e32 v20, v41, v20, vcc_lo
	v_cmp_ne_u32_e32 vcc_lo, 1, v25
	v_lshrrev_b32_e32 v41, 8, v19
	v_lshrrev_b32_e32 v45, 16, v20
	v_cndmask_b32_e32 v26, 11, v26, vcc_lo
	v_cmp_ne_u32_e32 vcc_lo, 3, v25
	v_lshlrev_b16 v26, 8, v26
	v_cndmask_b32_e32 v27, 11, v28, vcc_lo
	v_cmp_ne_u32_e32 vcc_lo, 0, v25
	v_lshrrev_b32_e32 v28, 16, v21
	v_lshlrev_b16 v27, 8, v27
	v_cndmask_b32_e32 v29, 11, v21, vcc_lo
	v_cmp_ne_u32_e32 vcc_lo, 2, v25
	v_or_b32_sdwa v26, v29, v26 dst_sel:DWORD dst_unused:UNUSED_PAD src0_sel:BYTE_0 src1_sel:DWORD
	v_cndmask_b32_e32 v28, 11, v28, vcc_lo
	v_cmp_ne_u32_e32 vcc_lo, 21, v25
	v_lshrrev_b32_e32 v29, 24, v19
	v_or_b32_sdwa v27, v28, v27 dst_sel:WORD_1 dst_unused:UNUSED_PAD src0_sel:BYTE_0 src1_sel:DWORD
	v_cndmask_b32_e32 v28, 11, v41, vcc_lo
	v_cmp_ne_u32_e32 vcc_lo, 23, v25
	v_lshrrev_b32_e32 v41, 16, v19
	v_or_b32_sdwa v26, v26, v27 dst_sel:DWORD dst_unused:UNUSED_PAD src0_sel:WORD_0 src1_sel:DWORD
	v_lshlrev_b16 v28, 8, v28
	v_cndmask_b32_e32 v29, 11, v29, vcc_lo
	v_cmp_ne_u32_e32 vcc_lo, 20, v25
	v_lshrrev_b32_e32 v27, 8, v22
	v_lshlrev_b16 v29, 8, v29
	v_cndmask_b32_e32 v42, 11, v19, vcc_lo
	v_cmp_ne_u32_e32 vcc_lo, 22, v25
	v_or_b32_sdwa v28, v42, v28 dst_sel:DWORD dst_unused:UNUSED_PAD src0_sel:BYTE_0 src1_sel:DWORD
	v_cndmask_b32_e32 v41, 11, v41, vcc_lo
	v_cmp_ne_u32_e32 vcc_lo, 17, v25
	v_lshrrev_b32_e32 v42, 24, v22
	v_or_b32_sdwa v29, v41, v29 dst_sel:WORD_1 dst_unused:UNUSED_PAD src0_sel:BYTE_0 src1_sel:DWORD
	v_cndmask_b32_e32 v27, 11, v27, vcc_lo
	v_cmp_ne_u32_e32 vcc_lo, 19, v25
	v_or_b32_sdwa v28, v28, v29 dst_sel:DWORD dst_unused:UNUSED_PAD src0_sel:WORD_0 src1_sel:DWORD
	v_lshlrev_b16 v27, 8, v27
	v_cndmask_b32_e32 v41, 11, v42, vcc_lo
	v_cmp_ne_u32_e32 vcc_lo, 16, v25
	v_lshrrev_b32_e32 v42, 16, v22
	v_lshrrev_b32_e32 v29, 8, v20
	v_lshlrev_b16 v41, 8, v41
	v_cndmask_b32_e32 v43, 11, v22, vcc_lo
	v_cmp_ne_u32_e32 vcc_lo, 18, v25
	v_or_b32_sdwa v27, v43, v27 dst_sel:DWORD dst_unused:UNUSED_PAD src0_sel:BYTE_0 src1_sel:DWORD
	v_cndmask_b32_e32 v42, 11, v42, vcc_lo
	v_cmp_ne_u32_e32 vcc_lo, 13, v25
	v_lshrrev_b32_e32 v43, 24, v20
	v_or_b32_sdwa v41, v42, v41 dst_sel:WORD_1 dst_unused:UNUSED_PAD src0_sel:BYTE_0 src1_sel:DWORD
	v_cndmask_b32_e32 v29, 11, v29, vcc_lo
	v_cmp_ne_u32_e32 vcc_lo, 15, v25
	v_or_b32_sdwa v27, v27, v41 dst_sel:DWORD dst_unused:UNUSED_PAD src0_sel:WORD_0 src1_sel:DWORD
	v_lshlrev_b16 v29, 8, v29
	v_cndmask_b32_e32 v42, 11, v43, vcc_lo
	v_cmp_ne_u32_e32 vcc_lo, 12, v25
	v_lshrrev_b32_e32 v41, 24, v24
	v_lshlrev_b16 v42, 8, v42
	v_cndmask_b32_e32 v43, 11, v20, vcc_lo
	v_cmp_ne_u32_e32 vcc_lo, 9, v25
	v_or_b32_sdwa v29, v43, v29 dst_sel:DWORD dst_unused:UNUSED_PAD src0_sel:BYTE_0 src1_sel:DWORD
	v_cndmask_b32_e32 v44, 11, v44, vcc_lo
	v_cmp_ne_u32_e32 vcc_lo, 14, v25
	v_lshlrev_b16 v44, 8, v44
	v_cndmask_b32_e32 v45, 11, v45, vcc_lo
	v_cmp_ne_u32_e32 vcc_lo, 8, v25
	v_or_b32_sdwa v42, v45, v42 dst_sel:WORD_1 dst_unused:UNUSED_PAD src0_sel:BYTE_0 src1_sel:DWORD
	v_cndmask_b32_e32 v46, 11, v24, vcc_lo
	v_cmp_ne_u32_e32 vcc_lo, 11, v25
	v_lshrrev_b32_e32 v45, 24, v23
	v_or_b32_sdwa v29, v29, v42 dst_sel:DWORD dst_unused:UNUSED_PAD src0_sel:WORD_0 src1_sel:DWORD
	v_or_b32_sdwa v43, v46, v44 dst_sel:DWORD dst_unused:UNUSED_PAD src0_sel:BYTE_0 src1_sel:DWORD
	v_lshrrev_b32_e32 v44, 8, v23
	v_cndmask_b32_e32 v41, 11, v41, vcc_lo
	v_cmp_ne_u32_e32 vcc_lo, 5, v25
	v_lshrrev_b32_e32 v46, 16, v24
	v_lshlrev_b16 v41, 8, v41
	v_cndmask_b32_e32 v44, 11, v44, vcc_lo
	v_cmp_ne_u32_e32 vcc_lo, 7, v25
	v_lshlrev_b16 v44, 8, v44
	v_cndmask_b32_e32 v45, 11, v45, vcc_lo
	v_cmp_ne_u32_e32 vcc_lo, 4, v25
	v_lshlrev_b16 v45, 8, v45
	v_cndmask_b32_e32 v48, 11, v23, vcc_lo
	v_cmp_ne_u32_e32 vcc_lo, 6, v25
	v_or_b32_sdwa v44, v48, v44 dst_sel:DWORD dst_unused:UNUSED_PAD src0_sel:BYTE_0 src1_sel:DWORD
	v_cndmask_b32_e32 v47, 11, v47, vcc_lo
	v_cmp_ne_u32_e32 vcc_lo, 10, v25
	v_or_b32_sdwa v45, v47, v45 dst_sel:WORD_1 dst_unused:UNUSED_PAD src0_sel:BYTE_0 src1_sel:DWORD
	v_cndmask_b32_e32 v46, 11, v46, vcc_lo
	v_bfe_u32 v47, v18, 11, 1
	v_cmp_eq_u32_e32 vcc_lo, 0, v40
	v_or_b32_sdwa v40, v44, v45 dst_sel:DWORD dst_unused:UNUSED_PAD src0_sel:WORD_0 src1_sel:DWORD
	v_add_nc_u32_e32 v25, v25, v47
	v_cndmask_b32_e32 v21, v26, v21, vcc_lo
	v_or_b32_sdwa v26, v46, v41 dst_sel:WORD_1 dst_unused:UNUSED_PAD src0_sel:BYTE_0 src1_sel:DWORD
	v_cndmask_b32_e32 v23, v40, v23, vcc_lo
	v_cndmask_b32_e32 v19, v28, v19, vcc_lo
	v_cmp_ne_u32_e64 s4, 1, v25
	v_lshrrev_b32_e32 v41, 8, v21
	v_lshrrev_b32_e32 v42, 24, v21
	v_or_b32_sdwa v26, v43, v26 dst_sel:DWORD dst_unused:UNUSED_PAD src0_sel:WORD_0 src1_sel:DWORD
	v_cndmask_b32_e32 v20, v29, v20, vcc_lo
	v_cndmask_b32_e32 v22, v27, v22, vcc_lo
	v_cndmask_b32_e64 v40, 12, v41, s4
	v_cmp_ne_u32_e64 s4, 3, v25
	v_cndmask_b32_e32 v24, v26, v24, vcc_lo
	v_lshrrev_b32_e32 v27, 8, v19
	v_cmp_ne_u32_e32 vcc_lo, 21, v25
	v_lshlrev_b16 v40, 8, v40
	v_cndmask_b32_e64 v41, 12, v42, s4
	v_cmp_ne_u32_e64 s4, 0, v25
	v_lshrrev_b32_e32 v42, 16, v21
	v_cndmask_b32_e32 v27, 12, v27, vcc_lo
	v_cmp_ne_u32_e32 vcc_lo, 23, v25
	v_lshlrev_b16 v41, 8, v41
	v_cndmask_b32_e64 v43, 12, v21, s4
	v_cmp_ne_u32_e64 s4, 2, v25
	v_and_b32_e32 v29, 0x1000, v18
	v_lshlrev_b16 v27, 8, v27
	v_lshrrev_b32_e32 v44, 24, v20
	v_or_b32_sdwa v26, v43, v40 dst_sel:DWORD dst_unused:UNUSED_PAD src0_sel:BYTE_0 src1_sel:DWORD
	v_cndmask_b32_e64 v42, 12, v42, s4
	v_lshrrev_b32_e32 v40, 24, v19
	v_cmp_ne_u32_e64 s4, 17, v25
	v_lshrrev_b32_e32 v43, 16, v22
	v_lshrrev_b32_e32 v47, 16, v24
	v_or_b32_sdwa v28, v42, v41 dst_sel:WORD_1 dst_unused:UNUSED_PAD src0_sel:BYTE_0 src1_sel:DWORD
	v_lshrrev_b32_e32 v42, 8, v20
	v_lshrrev_b32_e32 v48, 8, v23
	;; [unrolled: 1-line block ×4, first 2 shown]
	v_or_b32_sdwa v26, v26, v28 dst_sel:DWORD dst_unused:UNUSED_PAD src0_sel:WORD_0 src1_sel:DWORD
	v_cndmask_b32_e32 v28, 12, v40, vcc_lo
	v_cmp_ne_u32_e32 vcc_lo, 20, v25
	v_lshrrev_b32_e32 v40, 16, v19
	v_lshlrev_b16 v28, 8, v28
	v_cndmask_b32_e32 v41, 12, v19, vcc_lo
	v_cmp_ne_u32_e32 vcc_lo, 22, v25
	v_or_b32_sdwa v27, v41, v27 dst_sel:DWORD dst_unused:UNUSED_PAD src0_sel:BYTE_0 src1_sel:DWORD
	v_cndmask_b32_e32 v40, 12, v40, vcc_lo
	v_cmp_eq_u32_e32 vcc_lo, 0, v29
	v_lshrrev_b32_e32 v29, 8, v22
	v_lshrrev_b32_e32 v41, 24, v22
	v_or_b32_sdwa v28, v40, v28 dst_sel:WORD_1 dst_unused:UNUSED_PAD src0_sel:BYTE_0 src1_sel:DWORD
	v_cndmask_b32_e32 v21, v26, v21, vcc_lo
	v_cndmask_b32_e64 v29, 12, v29, s4
	v_cmp_ne_u32_e64 s4, 19, v25
	v_or_b32_sdwa v27, v27, v28 dst_sel:DWORD dst_unused:UNUSED_PAD src0_sel:WORD_0 src1_sel:DWORD
	v_lshrrev_b32_e32 v26, 8, v21
	v_lshlrev_b16 v29, 8, v29
	v_cndmask_b32_e64 v40, 12, v41, s4
	v_cmp_ne_u32_e64 s4, 16, v25
	v_cndmask_b32_e32 v19, v27, v19, vcc_lo
	v_lshlrev_b16 v40, 8, v40
	v_cndmask_b32_e64 v41, 12, v22, s4
	v_cmp_ne_u32_e64 s4, 13, v25
	v_or_b32_sdwa v29, v41, v29 dst_sel:DWORD dst_unused:UNUSED_PAD src0_sel:BYTE_0 src1_sel:DWORD
	v_cndmask_b32_e64 v42, 12, v42, s4
	v_cmp_ne_u32_e64 s4, 18, v25
	v_lshlrev_b16 v42, 8, v42
	v_cndmask_b32_e64 v43, 12, v43, s4
	v_cmp_ne_u32_e64 s4, 12, v25
	v_or_b32_sdwa v40, v43, v40 dst_sel:WORD_1 dst_unused:UNUSED_PAD src0_sel:BYTE_0 src1_sel:DWORD
	v_cndmask_b32_e64 v45, 12, v20, s4
	v_cmp_ne_u32_e64 s4, 15, v25
	v_or_b32_sdwa v28, v29, v40 dst_sel:DWORD dst_unused:UNUSED_PAD src0_sel:WORD_0 src1_sel:DWORD
	v_or_b32_sdwa v41, v45, v42 dst_sel:DWORD dst_unused:UNUSED_PAD src0_sel:BYTE_0 src1_sel:DWORD
	v_cndmask_b32_e64 v44, 12, v44, s4
	v_lshrrev_b32_e32 v42, 8, v24
	v_cmp_ne_u32_e64 s4, 9, v25
	v_lshrrev_b32_e32 v45, 16, v20
	v_cndmask_b32_e32 v22, v28, v22, vcc_lo
	v_lshlrev_b16 v43, 8, v44
	v_lshrrev_b32_e32 v44, 24, v24
	v_cndmask_b32_e64 v42, 12, v42, s4
	v_cmp_ne_u32_e64 s4, 11, v25
	v_lshrrev_b32_e32 v28, 24, v21
	v_lshlrev_b16 v42, 8, v42
	v_cndmask_b32_e64 v44, 12, v44, s4
	v_cmp_ne_u32_e64 s4, 8, v25
	v_lshlrev_b16 v44, 8, v44
	v_cndmask_b32_e64 v46, 12, v24, s4
	v_cmp_ne_u32_e64 s4, 10, v25
	v_or_b32_sdwa v42, v46, v42 dst_sel:DWORD dst_unused:UNUSED_PAD src0_sel:BYTE_0 src1_sel:DWORD
	v_cndmask_b32_e64 v47, 12, v47, s4
	v_cmp_ne_u32_e64 s4, 5, v25
	v_or_b32_sdwa v44, v47, v44 dst_sel:WORD_1 dst_unused:UNUSED_PAD src0_sel:BYTE_0 src1_sel:DWORD
	v_cndmask_b32_e64 v48, 12, v48, s4
	v_cmp_ne_u32_e64 s4, 7, v25
	v_or_b32_sdwa v40, v42, v44 dst_sel:DWORD dst_unused:UNUSED_PAD src0_sel:WORD_0 src1_sel:DWORD
	v_lshlrev_b16 v48, 8, v48
	v_cndmask_b32_e64 v49, 12, v49, s4
	v_cmp_ne_u32_e64 s4, 4, v25
	v_bfe_u32 v42, v18, 12, 1
	v_cndmask_b32_e32 v24, v40, v24, vcc_lo
	v_and_b32_e32 v40, 0x2000, v18
	v_lshlrev_b16 v49, 8, v49
	v_cndmask_b32_e64 v51, 12, v23, s4
	v_cmp_ne_u32_e64 s4, 6, v25
	v_lshrrev_b32_e32 v44, 8, v24
	v_or_b32_sdwa v46, v51, v48 dst_sel:DWORD dst_unused:UNUSED_PAD src0_sel:BYTE_0 src1_sel:DWORD
	v_cndmask_b32_e64 v50, 12, v50, s4
	v_cmp_ne_u32_e64 s4, 14, v25
	v_add_nc_u32_e32 v25, v25, v42
	v_or_b32_sdwa v48, v50, v49 dst_sel:WORD_1 dst_unused:UNUSED_PAD src0_sel:BYTE_0 src1_sel:DWORD
	v_cndmask_b32_e64 v45, 12, v45, s4
	v_or_b32_sdwa v29, v46, v48 dst_sel:DWORD dst_unused:UNUSED_PAD src0_sel:WORD_0 src1_sel:DWORD
	v_or_b32_sdwa v43, v45, v43 dst_sel:WORD_1 dst_unused:UNUSED_PAD src0_sel:BYTE_0 src1_sel:DWORD
	v_cndmask_b32_e32 v23, v29, v23, vcc_lo
	v_or_b32_sdwa v41, v41, v43 dst_sel:DWORD dst_unused:UNUSED_PAD src0_sel:WORD_0 src1_sel:DWORD
	v_lshrrev_b32_e32 v47, 16, v23
	v_cndmask_b32_e32 v20, v41, v20, vcc_lo
	v_cmp_ne_u32_e32 vcc_lo, 1, v25
	v_lshrrev_b32_e32 v41, 8, v19
	v_lshrrev_b32_e32 v45, 16, v20
	v_cndmask_b32_e32 v26, 13, v26, vcc_lo
	v_cmp_ne_u32_e32 vcc_lo, 3, v25
	v_lshlrev_b16 v26, 8, v26
	v_cndmask_b32_e32 v27, 13, v28, vcc_lo
	v_cmp_ne_u32_e32 vcc_lo, 0, v25
	v_lshrrev_b32_e32 v28, 16, v21
	v_lshlrev_b16 v27, 8, v27
	v_cndmask_b32_e32 v29, 13, v21, vcc_lo
	v_cmp_ne_u32_e32 vcc_lo, 2, v25
	v_or_b32_sdwa v26, v29, v26 dst_sel:DWORD dst_unused:UNUSED_PAD src0_sel:BYTE_0 src1_sel:DWORD
	v_cndmask_b32_e32 v28, 13, v28, vcc_lo
	v_cmp_ne_u32_e32 vcc_lo, 21, v25
	v_lshrrev_b32_e32 v29, 24, v19
	v_or_b32_sdwa v27, v28, v27 dst_sel:WORD_1 dst_unused:UNUSED_PAD src0_sel:BYTE_0 src1_sel:DWORD
	v_cndmask_b32_e32 v28, 13, v41, vcc_lo
	v_cmp_ne_u32_e32 vcc_lo, 23, v25
	v_lshrrev_b32_e32 v41, 16, v19
	v_or_b32_sdwa v26, v26, v27 dst_sel:DWORD dst_unused:UNUSED_PAD src0_sel:WORD_0 src1_sel:DWORD
	v_lshlrev_b16 v28, 8, v28
	v_cndmask_b32_e32 v29, 13, v29, vcc_lo
	v_cmp_ne_u32_e32 vcc_lo, 20, v25
	v_lshrrev_b32_e32 v27, 8, v22
	v_lshlrev_b16 v29, 8, v29
	v_cndmask_b32_e32 v42, 13, v19, vcc_lo
	v_cmp_ne_u32_e32 vcc_lo, 22, v25
	v_or_b32_sdwa v28, v42, v28 dst_sel:DWORD dst_unused:UNUSED_PAD src0_sel:BYTE_0 src1_sel:DWORD
	v_cndmask_b32_e32 v41, 13, v41, vcc_lo
	v_cmp_ne_u32_e32 vcc_lo, 17, v25
	v_lshrrev_b32_e32 v42, 24, v22
	v_or_b32_sdwa v29, v41, v29 dst_sel:WORD_1 dst_unused:UNUSED_PAD src0_sel:BYTE_0 src1_sel:DWORD
	v_cndmask_b32_e32 v27, 13, v27, vcc_lo
	v_cmp_ne_u32_e32 vcc_lo, 19, v25
	v_or_b32_sdwa v28, v28, v29 dst_sel:DWORD dst_unused:UNUSED_PAD src0_sel:WORD_0 src1_sel:DWORD
	v_lshlrev_b16 v27, 8, v27
	v_cndmask_b32_e32 v41, 13, v42, vcc_lo
	v_cmp_ne_u32_e32 vcc_lo, 16, v25
	v_lshrrev_b32_e32 v42, 16, v22
	v_lshrrev_b32_e32 v29, 8, v20
	v_lshlrev_b16 v41, 8, v41
	v_cndmask_b32_e32 v43, 13, v22, vcc_lo
	v_cmp_ne_u32_e32 vcc_lo, 18, v25
	v_or_b32_sdwa v27, v43, v27 dst_sel:DWORD dst_unused:UNUSED_PAD src0_sel:BYTE_0 src1_sel:DWORD
	v_cndmask_b32_e32 v42, 13, v42, vcc_lo
	v_cmp_ne_u32_e32 vcc_lo, 13, v25
	v_lshrrev_b32_e32 v43, 24, v20
	v_or_b32_sdwa v41, v42, v41 dst_sel:WORD_1 dst_unused:UNUSED_PAD src0_sel:BYTE_0 src1_sel:DWORD
	v_cndmask_b32_e32 v29, 13, v29, vcc_lo
	v_cmp_ne_u32_e32 vcc_lo, 15, v25
	v_or_b32_sdwa v27, v27, v41 dst_sel:DWORD dst_unused:UNUSED_PAD src0_sel:WORD_0 src1_sel:DWORD
	v_lshlrev_b16 v29, 8, v29
	v_cndmask_b32_e32 v42, 13, v43, vcc_lo
	v_cmp_ne_u32_e32 vcc_lo, 12, v25
	v_lshrrev_b32_e32 v41, 24, v24
	v_lshlrev_b16 v42, 8, v42
	v_cndmask_b32_e32 v43, 13, v20, vcc_lo
	v_cmp_ne_u32_e32 vcc_lo, 9, v25
	v_or_b32_sdwa v29, v43, v29 dst_sel:DWORD dst_unused:UNUSED_PAD src0_sel:BYTE_0 src1_sel:DWORD
	v_cndmask_b32_e32 v44, 13, v44, vcc_lo
	v_cmp_ne_u32_e32 vcc_lo, 14, v25
	v_lshlrev_b16 v44, 8, v44
	v_cndmask_b32_e32 v45, 13, v45, vcc_lo
	v_cmp_ne_u32_e32 vcc_lo, 8, v25
	v_or_b32_sdwa v42, v45, v42 dst_sel:WORD_1 dst_unused:UNUSED_PAD src0_sel:BYTE_0 src1_sel:DWORD
	v_cndmask_b32_e32 v46, 13, v24, vcc_lo
	v_cmp_ne_u32_e32 vcc_lo, 11, v25
	v_lshrrev_b32_e32 v45, 24, v23
	v_or_b32_sdwa v29, v29, v42 dst_sel:DWORD dst_unused:UNUSED_PAD src0_sel:WORD_0 src1_sel:DWORD
	v_or_b32_sdwa v43, v46, v44 dst_sel:DWORD dst_unused:UNUSED_PAD src0_sel:BYTE_0 src1_sel:DWORD
	v_lshrrev_b32_e32 v44, 8, v23
	v_cndmask_b32_e32 v41, 13, v41, vcc_lo
	v_cmp_ne_u32_e32 vcc_lo, 5, v25
	v_lshrrev_b32_e32 v46, 16, v24
	v_lshlrev_b16 v41, 8, v41
	v_cndmask_b32_e32 v44, 13, v44, vcc_lo
	v_cmp_ne_u32_e32 vcc_lo, 7, v25
	v_lshlrev_b16 v44, 8, v44
	v_cndmask_b32_e32 v45, 13, v45, vcc_lo
	v_cmp_ne_u32_e32 vcc_lo, 4, v25
	;; [unrolled: 3-line block ×3, first 2 shown]
	v_or_b32_sdwa v44, v48, v44 dst_sel:DWORD dst_unused:UNUSED_PAD src0_sel:BYTE_0 src1_sel:DWORD
	v_cndmask_b32_e32 v47, 13, v47, vcc_lo
	v_cmp_ne_u32_e32 vcc_lo, 10, v25
	v_or_b32_sdwa v45, v47, v45 dst_sel:WORD_1 dst_unused:UNUSED_PAD src0_sel:BYTE_0 src1_sel:DWORD
	v_cndmask_b32_e32 v46, 13, v46, vcc_lo
	v_bfe_u32 v47, v18, 13, 1
	v_cmp_eq_u32_e32 vcc_lo, 0, v40
	v_or_b32_sdwa v40, v44, v45 dst_sel:DWORD dst_unused:UNUSED_PAD src0_sel:WORD_0 src1_sel:DWORD
	v_add_nc_u32_e32 v25, v25, v47
	v_cndmask_b32_e32 v21, v26, v21, vcc_lo
	v_or_b32_sdwa v26, v46, v41 dst_sel:WORD_1 dst_unused:UNUSED_PAD src0_sel:BYTE_0 src1_sel:DWORD
	v_cndmask_b32_e32 v23, v40, v23, vcc_lo
	v_cndmask_b32_e32 v19, v28, v19, vcc_lo
	v_cmp_ne_u32_e64 s4, 1, v25
	v_lshrrev_b32_e32 v41, 8, v21
	v_lshrrev_b32_e32 v42, 24, v21
	v_or_b32_sdwa v26, v43, v26 dst_sel:DWORD dst_unused:UNUSED_PAD src0_sel:WORD_0 src1_sel:DWORD
	v_cndmask_b32_e32 v20, v29, v20, vcc_lo
	v_cndmask_b32_e32 v22, v27, v22, vcc_lo
	v_cndmask_b32_e64 v40, 14, v41, s4
	v_cmp_ne_u32_e64 s4, 3, v25
	v_cndmask_b32_e32 v24, v26, v24, vcc_lo
	v_lshrrev_b32_e32 v27, 8, v19
	v_cmp_ne_u32_e32 vcc_lo, 21, v25
	v_lshlrev_b16 v40, 8, v40
	v_cndmask_b32_e64 v41, 14, v42, s4
	v_cmp_ne_u32_e64 s4, 0, v25
	v_lshrrev_b32_e32 v42, 16, v21
	v_cndmask_b32_e32 v27, 14, v27, vcc_lo
	v_cmp_ne_u32_e32 vcc_lo, 23, v25
	v_lshlrev_b16 v41, 8, v41
	v_cndmask_b32_e64 v43, 14, v21, s4
	v_cmp_ne_u32_e64 s4, 2, v25
	v_and_b32_e32 v29, 0x4000, v18
	v_lshlrev_b16 v27, 8, v27
	v_lshrrev_b32_e32 v44, 24, v20
	v_or_b32_sdwa v26, v43, v40 dst_sel:DWORD dst_unused:UNUSED_PAD src0_sel:BYTE_0 src1_sel:DWORD
	v_cndmask_b32_e64 v42, 14, v42, s4
	v_lshrrev_b32_e32 v40, 24, v19
	v_cmp_ne_u32_e64 s4, 17, v25
	v_lshrrev_b32_e32 v43, 16, v22
	v_lshrrev_b32_e32 v47, 16, v24
	v_or_b32_sdwa v28, v42, v41 dst_sel:WORD_1 dst_unused:UNUSED_PAD src0_sel:BYTE_0 src1_sel:DWORD
	v_lshrrev_b32_e32 v42, 8, v20
	v_lshrrev_b32_e32 v48, 8, v23
	;; [unrolled: 1-line block ×4, first 2 shown]
	v_or_b32_sdwa v26, v26, v28 dst_sel:DWORD dst_unused:UNUSED_PAD src0_sel:WORD_0 src1_sel:DWORD
	v_cndmask_b32_e32 v28, 14, v40, vcc_lo
	v_cmp_ne_u32_e32 vcc_lo, 20, v25
	v_lshrrev_b32_e32 v40, 16, v19
	v_lshlrev_b16 v28, 8, v28
	v_cndmask_b32_e32 v41, 14, v19, vcc_lo
	v_cmp_ne_u32_e32 vcc_lo, 22, v25
	v_or_b32_sdwa v27, v41, v27 dst_sel:DWORD dst_unused:UNUSED_PAD src0_sel:BYTE_0 src1_sel:DWORD
	v_cndmask_b32_e32 v40, 14, v40, vcc_lo
	v_cmp_eq_u32_e32 vcc_lo, 0, v29
	v_lshrrev_b32_e32 v29, 8, v22
	v_lshrrev_b32_e32 v41, 24, v22
	v_or_b32_sdwa v28, v40, v28 dst_sel:WORD_1 dst_unused:UNUSED_PAD src0_sel:BYTE_0 src1_sel:DWORD
	v_cndmask_b32_e32 v21, v26, v21, vcc_lo
	v_cndmask_b32_e64 v29, 14, v29, s4
	v_cmp_ne_u32_e64 s4, 19, v25
	v_or_b32_sdwa v27, v27, v28 dst_sel:DWORD dst_unused:UNUSED_PAD src0_sel:WORD_0 src1_sel:DWORD
	v_lshrrev_b32_e32 v26, 8, v21
	v_lshlrev_b16 v29, 8, v29
	v_cndmask_b32_e64 v40, 14, v41, s4
	v_cmp_ne_u32_e64 s4, 16, v25
	v_cndmask_b32_e32 v19, v27, v19, vcc_lo
	v_lshlrev_b16 v40, 8, v40
	v_cndmask_b32_e64 v41, 14, v22, s4
	v_cmp_ne_u32_e64 s4, 13, v25
	v_or_b32_sdwa v29, v41, v29 dst_sel:DWORD dst_unused:UNUSED_PAD src0_sel:BYTE_0 src1_sel:DWORD
	v_cndmask_b32_e64 v42, 14, v42, s4
	v_cmp_ne_u32_e64 s4, 18, v25
	v_lshlrev_b16 v42, 8, v42
	v_cndmask_b32_e64 v43, 14, v43, s4
	v_cmp_ne_u32_e64 s4, 12, v25
	v_or_b32_sdwa v40, v43, v40 dst_sel:WORD_1 dst_unused:UNUSED_PAD src0_sel:BYTE_0 src1_sel:DWORD
	v_cndmask_b32_e64 v45, 14, v20, s4
	v_cmp_ne_u32_e64 s4, 15, v25
	v_or_b32_sdwa v28, v29, v40 dst_sel:DWORD dst_unused:UNUSED_PAD src0_sel:WORD_0 src1_sel:DWORD
	v_or_b32_sdwa v41, v45, v42 dst_sel:DWORD dst_unused:UNUSED_PAD src0_sel:BYTE_0 src1_sel:DWORD
	v_cndmask_b32_e64 v44, 14, v44, s4
	v_lshrrev_b32_e32 v42, 8, v24
	v_cmp_ne_u32_e64 s4, 9, v25
	v_lshrrev_b32_e32 v45, 16, v20
	v_cndmask_b32_e32 v22, v28, v22, vcc_lo
	v_lshlrev_b16 v43, 8, v44
	v_lshrrev_b32_e32 v44, 24, v24
	v_cndmask_b32_e64 v42, 14, v42, s4
	v_cmp_ne_u32_e64 s4, 11, v25
	v_lshrrev_b32_e32 v28, 24, v21
	v_lshlrev_b16 v42, 8, v42
	v_cndmask_b32_e64 v44, 14, v44, s4
	v_cmp_ne_u32_e64 s4, 8, v25
	v_lshlrev_b16 v44, 8, v44
	v_cndmask_b32_e64 v46, 14, v24, s4
	v_cmp_ne_u32_e64 s4, 10, v25
	v_or_b32_sdwa v42, v46, v42 dst_sel:DWORD dst_unused:UNUSED_PAD src0_sel:BYTE_0 src1_sel:DWORD
	v_cndmask_b32_e64 v47, 14, v47, s4
	v_cmp_ne_u32_e64 s4, 5, v25
	v_or_b32_sdwa v44, v47, v44 dst_sel:WORD_1 dst_unused:UNUSED_PAD src0_sel:BYTE_0 src1_sel:DWORD
	v_cndmask_b32_e64 v48, 14, v48, s4
	v_cmp_ne_u32_e64 s4, 7, v25
	v_or_b32_sdwa v40, v42, v44 dst_sel:DWORD dst_unused:UNUSED_PAD src0_sel:WORD_0 src1_sel:DWORD
	v_lshlrev_b16 v48, 8, v48
	v_cndmask_b32_e64 v49, 14, v49, s4
	v_cmp_ne_u32_e64 s4, 4, v25
	v_bfe_u32 v42, v18, 14, 1
	v_cndmask_b32_e32 v24, v40, v24, vcc_lo
	v_and_b32_e32 v40, 0x8000, v18
	v_lshlrev_b16 v49, 8, v49
	v_cndmask_b32_e64 v51, 14, v23, s4
	v_cmp_ne_u32_e64 s4, 6, v25
	v_lshrrev_b32_e32 v44, 8, v24
	v_or_b32_sdwa v46, v51, v48 dst_sel:DWORD dst_unused:UNUSED_PAD src0_sel:BYTE_0 src1_sel:DWORD
	v_cndmask_b32_e64 v50, 14, v50, s4
	v_cmp_ne_u32_e64 s4, 14, v25
	v_add_nc_u32_e32 v25, v25, v42
	v_or_b32_sdwa v48, v50, v49 dst_sel:WORD_1 dst_unused:UNUSED_PAD src0_sel:BYTE_0 src1_sel:DWORD
	v_cndmask_b32_e64 v45, 14, v45, s4
	v_or_b32_sdwa v29, v46, v48 dst_sel:DWORD dst_unused:UNUSED_PAD src0_sel:WORD_0 src1_sel:DWORD
	v_or_b32_sdwa v43, v45, v43 dst_sel:WORD_1 dst_unused:UNUSED_PAD src0_sel:BYTE_0 src1_sel:DWORD
	v_cndmask_b32_e32 v23, v29, v23, vcc_lo
	v_or_b32_sdwa v41, v41, v43 dst_sel:DWORD dst_unused:UNUSED_PAD src0_sel:WORD_0 src1_sel:DWORD
	v_lshrrev_b32_e32 v47, 16, v23
	v_cndmask_b32_e32 v20, v41, v20, vcc_lo
	v_cmp_ne_u32_e32 vcc_lo, 1, v25
	v_lshrrev_b32_e32 v41, 8, v19
	v_lshrrev_b32_e32 v45, 16, v20
	v_cndmask_b32_e32 v26, 15, v26, vcc_lo
	v_cmp_ne_u32_e32 vcc_lo, 3, v25
	v_lshlrev_b16 v26, 8, v26
	v_cndmask_b32_e32 v27, 15, v28, vcc_lo
	v_cmp_ne_u32_e32 vcc_lo, 0, v25
	v_lshrrev_b32_e32 v28, 16, v21
	v_lshlrev_b16 v27, 8, v27
	v_cndmask_b32_e32 v29, 15, v21, vcc_lo
	v_cmp_ne_u32_e32 vcc_lo, 2, v25
	v_or_b32_sdwa v26, v29, v26 dst_sel:DWORD dst_unused:UNUSED_PAD src0_sel:BYTE_0 src1_sel:DWORD
	v_cndmask_b32_e32 v28, 15, v28, vcc_lo
	v_cmp_ne_u32_e32 vcc_lo, 21, v25
	v_lshrrev_b32_e32 v29, 24, v19
	v_or_b32_sdwa v27, v28, v27 dst_sel:WORD_1 dst_unused:UNUSED_PAD src0_sel:BYTE_0 src1_sel:DWORD
	v_cndmask_b32_e32 v28, 15, v41, vcc_lo
	v_cmp_ne_u32_e32 vcc_lo, 23, v25
	v_lshrrev_b32_e32 v41, 16, v19
	v_or_b32_sdwa v26, v26, v27 dst_sel:DWORD dst_unused:UNUSED_PAD src0_sel:WORD_0 src1_sel:DWORD
	v_lshlrev_b16 v28, 8, v28
	v_cndmask_b32_e32 v29, 15, v29, vcc_lo
	v_cmp_ne_u32_e32 vcc_lo, 20, v25
	v_lshrrev_b32_e32 v27, 8, v22
	v_lshlrev_b16 v29, 8, v29
	v_cndmask_b32_e32 v42, 15, v19, vcc_lo
	v_cmp_ne_u32_e32 vcc_lo, 22, v25
	v_or_b32_sdwa v28, v42, v28 dst_sel:DWORD dst_unused:UNUSED_PAD src0_sel:BYTE_0 src1_sel:DWORD
	v_cndmask_b32_e32 v41, 15, v41, vcc_lo
	v_cmp_ne_u32_e32 vcc_lo, 17, v25
	v_lshrrev_b32_e32 v42, 24, v22
	v_or_b32_sdwa v29, v41, v29 dst_sel:WORD_1 dst_unused:UNUSED_PAD src0_sel:BYTE_0 src1_sel:DWORD
	v_cndmask_b32_e32 v27, 15, v27, vcc_lo
	v_cmp_ne_u32_e32 vcc_lo, 19, v25
	v_or_b32_sdwa v28, v28, v29 dst_sel:DWORD dst_unused:UNUSED_PAD src0_sel:WORD_0 src1_sel:DWORD
	v_lshlrev_b16 v27, 8, v27
	v_cndmask_b32_e32 v41, 15, v42, vcc_lo
	v_cmp_ne_u32_e32 vcc_lo, 16, v25
	v_lshrrev_b32_e32 v42, 16, v22
	v_lshrrev_b32_e32 v29, 8, v20
	v_lshlrev_b16 v41, 8, v41
	v_cndmask_b32_e32 v43, 15, v22, vcc_lo
	v_cmp_ne_u32_e32 vcc_lo, 18, v25
	v_or_b32_sdwa v27, v43, v27 dst_sel:DWORD dst_unused:UNUSED_PAD src0_sel:BYTE_0 src1_sel:DWORD
	v_cndmask_b32_e32 v42, 15, v42, vcc_lo
	v_cmp_ne_u32_e32 vcc_lo, 13, v25
	v_lshrrev_b32_e32 v43, 24, v20
	v_or_b32_sdwa v41, v42, v41 dst_sel:WORD_1 dst_unused:UNUSED_PAD src0_sel:BYTE_0 src1_sel:DWORD
	v_cndmask_b32_e32 v29, 15, v29, vcc_lo
	v_cmp_ne_u32_e32 vcc_lo, 15, v25
	v_or_b32_sdwa v27, v27, v41 dst_sel:DWORD dst_unused:UNUSED_PAD src0_sel:WORD_0 src1_sel:DWORD
	v_lshlrev_b16 v29, 8, v29
	v_cndmask_b32_e32 v42, 15, v43, vcc_lo
	v_cmp_ne_u32_e32 vcc_lo, 12, v25
	v_lshrrev_b32_e32 v41, 24, v24
	v_lshlrev_b16 v42, 8, v42
	v_cndmask_b32_e32 v43, 15, v20, vcc_lo
	v_cmp_ne_u32_e32 vcc_lo, 9, v25
	v_or_b32_sdwa v29, v43, v29 dst_sel:DWORD dst_unused:UNUSED_PAD src0_sel:BYTE_0 src1_sel:DWORD
	v_cndmask_b32_e32 v44, 15, v44, vcc_lo
	v_cmp_ne_u32_e32 vcc_lo, 14, v25
	v_lshlrev_b16 v44, 8, v44
	v_cndmask_b32_e32 v45, 15, v45, vcc_lo
	v_cmp_ne_u32_e32 vcc_lo, 8, v25
	v_or_b32_sdwa v42, v45, v42 dst_sel:WORD_1 dst_unused:UNUSED_PAD src0_sel:BYTE_0 src1_sel:DWORD
	v_cndmask_b32_e32 v46, 15, v24, vcc_lo
	v_cmp_ne_u32_e32 vcc_lo, 11, v25
	v_lshrrev_b32_e32 v45, 24, v23
	v_or_b32_sdwa v29, v29, v42 dst_sel:DWORD dst_unused:UNUSED_PAD src0_sel:WORD_0 src1_sel:DWORD
	v_or_b32_sdwa v43, v46, v44 dst_sel:DWORD dst_unused:UNUSED_PAD src0_sel:BYTE_0 src1_sel:DWORD
	v_lshrrev_b32_e32 v44, 8, v23
	v_cndmask_b32_e32 v41, 15, v41, vcc_lo
	v_cmp_ne_u32_e32 vcc_lo, 5, v25
	v_lshrrev_b32_e32 v46, 16, v24
	v_lshlrev_b16 v41, 8, v41
	v_cndmask_b32_e32 v44, 15, v44, vcc_lo
	v_cmp_ne_u32_e32 vcc_lo, 7, v25
	v_lshlrev_b16 v44, 8, v44
	v_cndmask_b32_e32 v45, 15, v45, vcc_lo
	v_cmp_ne_u32_e32 vcc_lo, 4, v25
	;; [unrolled: 3-line block ×3, first 2 shown]
	v_or_b32_sdwa v44, v48, v44 dst_sel:DWORD dst_unused:UNUSED_PAD src0_sel:BYTE_0 src1_sel:DWORD
	v_cndmask_b32_e32 v47, 15, v47, vcc_lo
	v_cmp_ne_u32_e32 vcc_lo, 10, v25
	v_or_b32_sdwa v45, v47, v45 dst_sel:WORD_1 dst_unused:UNUSED_PAD src0_sel:BYTE_0 src1_sel:DWORD
	v_cndmask_b32_e32 v46, 15, v46, vcc_lo
	v_bfe_u32 v47, v18, 15, 1
	v_cmp_eq_u32_e32 vcc_lo, 0, v40
	v_or_b32_sdwa v40, v44, v45 dst_sel:DWORD dst_unused:UNUSED_PAD src0_sel:WORD_0 src1_sel:DWORD
	v_add_nc_u32_e32 v25, v25, v47
	v_cndmask_b32_e32 v21, v26, v21, vcc_lo
	v_or_b32_sdwa v26, v46, v41 dst_sel:WORD_1 dst_unused:UNUSED_PAD src0_sel:BYTE_0 src1_sel:DWORD
	v_cndmask_b32_e32 v23, v40, v23, vcc_lo
	v_cndmask_b32_e32 v19, v28, v19, vcc_lo
	v_cmp_ne_u32_e64 s4, 1, v25
	v_lshrrev_b32_e32 v41, 8, v21
	v_lshrrev_b32_e32 v42, 24, v21
	v_or_b32_sdwa v26, v43, v26 dst_sel:DWORD dst_unused:UNUSED_PAD src0_sel:WORD_0 src1_sel:DWORD
	v_cndmask_b32_e32 v20, v29, v20, vcc_lo
	v_cndmask_b32_e32 v22, v27, v22, vcc_lo
	v_cndmask_b32_e64 v40, 16, v41, s4
	v_cmp_ne_u32_e64 s4, 3, v25
	v_cndmask_b32_e32 v24, v26, v24, vcc_lo
	v_lshrrev_b32_e32 v27, 8, v19
	v_cmp_ne_u32_e32 vcc_lo, 21, v25
	v_lshlrev_b16 v40, 8, v40
	v_cndmask_b32_e64 v41, 16, v42, s4
	v_cmp_ne_u32_e64 s4, 0, v25
	v_lshrrev_b32_e32 v42, 16, v21
	v_cndmask_b32_e32 v27, 16, v27, vcc_lo
	v_cmp_ne_u32_e32 vcc_lo, 23, v25
	v_lshlrev_b16 v41, 8, v41
	v_cndmask_b32_e64 v43, 16, v21, s4
	v_cmp_ne_u32_e64 s4, 2, v25
	v_and_b32_e32 v29, 0x10000, v18
	v_lshlrev_b16 v27, 8, v27
	v_lshrrev_b32_e32 v44, 24, v20
	v_or_b32_sdwa v26, v43, v40 dst_sel:DWORD dst_unused:UNUSED_PAD src0_sel:BYTE_0 src1_sel:DWORD
	v_cndmask_b32_e64 v42, 16, v42, s4
	v_lshrrev_b32_e32 v40, 24, v19
	v_cmp_ne_u32_e64 s4, 17, v25
	v_lshrrev_b32_e32 v43, 16, v22
	v_lshrrev_b32_e32 v47, 16, v24
	v_or_b32_sdwa v28, v42, v41 dst_sel:WORD_1 dst_unused:UNUSED_PAD src0_sel:BYTE_0 src1_sel:DWORD
	v_lshrrev_b32_e32 v42, 8, v20
	v_lshrrev_b32_e32 v48, 8, v23
	;; [unrolled: 1-line block ×4, first 2 shown]
	v_or_b32_sdwa v26, v26, v28 dst_sel:DWORD dst_unused:UNUSED_PAD src0_sel:WORD_0 src1_sel:DWORD
	v_cndmask_b32_e32 v28, 16, v40, vcc_lo
	v_cmp_ne_u32_e32 vcc_lo, 20, v25
	v_lshrrev_b32_e32 v40, 16, v19
	v_lshlrev_b16 v28, 8, v28
	v_cndmask_b32_e32 v41, 16, v19, vcc_lo
	v_cmp_ne_u32_e32 vcc_lo, 22, v25
	v_or_b32_sdwa v27, v41, v27 dst_sel:DWORD dst_unused:UNUSED_PAD src0_sel:BYTE_0 src1_sel:DWORD
	v_cndmask_b32_e32 v40, 16, v40, vcc_lo
	v_cmp_eq_u32_e32 vcc_lo, 0, v29
	v_lshrrev_b32_e32 v29, 8, v22
	v_lshrrev_b32_e32 v41, 24, v22
	v_or_b32_sdwa v28, v40, v28 dst_sel:WORD_1 dst_unused:UNUSED_PAD src0_sel:BYTE_0 src1_sel:DWORD
	v_cndmask_b32_e32 v21, v26, v21, vcc_lo
	v_cndmask_b32_e64 v29, 16, v29, s4
	v_cmp_ne_u32_e64 s4, 19, v25
	v_or_b32_sdwa v27, v27, v28 dst_sel:DWORD dst_unused:UNUSED_PAD src0_sel:WORD_0 src1_sel:DWORD
	v_lshrrev_b32_e32 v26, 8, v21
	v_lshlrev_b16 v29, 8, v29
	v_cndmask_b32_e64 v40, 16, v41, s4
	v_cmp_ne_u32_e64 s4, 16, v25
	v_cndmask_b32_e32 v19, v27, v19, vcc_lo
	v_lshlrev_b16 v40, 8, v40
	v_cndmask_b32_e64 v41, 16, v22, s4
	v_cmp_ne_u32_e64 s4, 13, v25
	v_or_b32_sdwa v29, v41, v29 dst_sel:DWORD dst_unused:UNUSED_PAD src0_sel:BYTE_0 src1_sel:DWORD
	v_cndmask_b32_e64 v42, 16, v42, s4
	v_cmp_ne_u32_e64 s4, 18, v25
	v_lshlrev_b16 v42, 8, v42
	v_cndmask_b32_e64 v43, 16, v43, s4
	v_cmp_ne_u32_e64 s4, 12, v25
	v_or_b32_sdwa v40, v43, v40 dst_sel:WORD_1 dst_unused:UNUSED_PAD src0_sel:BYTE_0 src1_sel:DWORD
	v_cndmask_b32_e64 v45, 16, v20, s4
	v_cmp_ne_u32_e64 s4, 15, v25
	v_or_b32_sdwa v28, v29, v40 dst_sel:DWORD dst_unused:UNUSED_PAD src0_sel:WORD_0 src1_sel:DWORD
	v_or_b32_sdwa v41, v45, v42 dst_sel:DWORD dst_unused:UNUSED_PAD src0_sel:BYTE_0 src1_sel:DWORD
	v_cndmask_b32_e64 v44, 16, v44, s4
	v_lshrrev_b32_e32 v42, 8, v24
	v_cmp_ne_u32_e64 s4, 9, v25
	v_lshrrev_b32_e32 v45, 16, v20
	v_cndmask_b32_e32 v22, v28, v22, vcc_lo
	v_lshlrev_b16 v43, 8, v44
	v_lshrrev_b32_e32 v44, 24, v24
	v_cndmask_b32_e64 v42, 16, v42, s4
	v_cmp_ne_u32_e64 s4, 11, v25
	v_lshrrev_b32_e32 v28, 24, v21
	v_lshlrev_b16 v42, 8, v42
	v_cndmask_b32_e64 v44, 16, v44, s4
	v_cmp_ne_u32_e64 s4, 8, v25
	v_lshlrev_b16 v44, 8, v44
	v_cndmask_b32_e64 v46, 16, v24, s4
	v_cmp_ne_u32_e64 s4, 10, v25
	v_or_b32_sdwa v42, v46, v42 dst_sel:DWORD dst_unused:UNUSED_PAD src0_sel:BYTE_0 src1_sel:DWORD
	v_cndmask_b32_e64 v47, 16, v47, s4
	v_cmp_ne_u32_e64 s4, 5, v25
	v_or_b32_sdwa v44, v47, v44 dst_sel:WORD_1 dst_unused:UNUSED_PAD src0_sel:BYTE_0 src1_sel:DWORD
	v_cndmask_b32_e64 v48, 16, v48, s4
	v_cmp_ne_u32_e64 s4, 7, v25
	v_or_b32_sdwa v40, v42, v44 dst_sel:DWORD dst_unused:UNUSED_PAD src0_sel:WORD_0 src1_sel:DWORD
	v_lshlrev_b16 v48, 8, v48
	v_cndmask_b32_e64 v49, 16, v49, s4
	v_cmp_ne_u32_e64 s4, 4, v25
	v_bfe_u32 v42, v18, 16, 1
	v_cndmask_b32_e32 v24, v40, v24, vcc_lo
	v_and_b32_e32 v40, 0x20000, v18
	v_lshlrev_b16 v49, 8, v49
	v_cndmask_b32_e64 v51, 16, v23, s4
	v_cmp_ne_u32_e64 s4, 6, v25
	v_lshrrev_b32_e32 v44, 8, v24
	v_or_b32_sdwa v46, v51, v48 dst_sel:DWORD dst_unused:UNUSED_PAD src0_sel:BYTE_0 src1_sel:DWORD
	v_cndmask_b32_e64 v50, 16, v50, s4
	v_cmp_ne_u32_e64 s4, 14, v25
	v_add_nc_u32_e32 v25, v25, v42
	v_or_b32_sdwa v48, v50, v49 dst_sel:WORD_1 dst_unused:UNUSED_PAD src0_sel:BYTE_0 src1_sel:DWORD
	v_cndmask_b32_e64 v45, 16, v45, s4
	v_or_b32_sdwa v29, v46, v48 dst_sel:DWORD dst_unused:UNUSED_PAD src0_sel:WORD_0 src1_sel:DWORD
	v_or_b32_sdwa v43, v45, v43 dst_sel:WORD_1 dst_unused:UNUSED_PAD src0_sel:BYTE_0 src1_sel:DWORD
	v_cndmask_b32_e32 v23, v29, v23, vcc_lo
	v_or_b32_sdwa v41, v41, v43 dst_sel:DWORD dst_unused:UNUSED_PAD src0_sel:WORD_0 src1_sel:DWORD
	v_lshrrev_b32_e32 v47, 16, v23
	v_cndmask_b32_e32 v20, v41, v20, vcc_lo
	v_cmp_ne_u32_e32 vcc_lo, 1, v25
	v_lshrrev_b32_e32 v41, 8, v19
	v_lshrrev_b32_e32 v45, 16, v20
	v_cndmask_b32_e32 v26, 17, v26, vcc_lo
	v_cmp_ne_u32_e32 vcc_lo, 3, v25
	v_lshlrev_b16 v26, 8, v26
	v_cndmask_b32_e32 v27, 17, v28, vcc_lo
	v_cmp_ne_u32_e32 vcc_lo, 0, v25
	v_lshrrev_b32_e32 v28, 16, v21
	v_lshlrev_b16 v27, 8, v27
	v_cndmask_b32_e32 v29, 17, v21, vcc_lo
	v_cmp_ne_u32_e32 vcc_lo, 2, v25
	v_or_b32_sdwa v26, v29, v26 dst_sel:DWORD dst_unused:UNUSED_PAD src0_sel:BYTE_0 src1_sel:DWORD
	v_cndmask_b32_e32 v28, 17, v28, vcc_lo
	v_cmp_ne_u32_e32 vcc_lo, 21, v25
	v_lshrrev_b32_e32 v29, 24, v19
	v_or_b32_sdwa v27, v28, v27 dst_sel:WORD_1 dst_unused:UNUSED_PAD src0_sel:BYTE_0 src1_sel:DWORD
	v_cndmask_b32_e32 v28, 17, v41, vcc_lo
	v_cmp_ne_u32_e32 vcc_lo, 23, v25
	v_lshrrev_b32_e32 v41, 16, v19
	v_or_b32_sdwa v26, v26, v27 dst_sel:DWORD dst_unused:UNUSED_PAD src0_sel:WORD_0 src1_sel:DWORD
	v_lshlrev_b16 v28, 8, v28
	v_cndmask_b32_e32 v29, 17, v29, vcc_lo
	v_cmp_ne_u32_e32 vcc_lo, 20, v25
	v_lshrrev_b32_e32 v27, 8, v22
	v_lshlrev_b16 v29, 8, v29
	v_cndmask_b32_e32 v42, 17, v19, vcc_lo
	v_cmp_ne_u32_e32 vcc_lo, 22, v25
	v_or_b32_sdwa v28, v42, v28 dst_sel:DWORD dst_unused:UNUSED_PAD src0_sel:BYTE_0 src1_sel:DWORD
	v_cndmask_b32_e32 v41, 17, v41, vcc_lo
	v_cmp_ne_u32_e32 vcc_lo, 17, v25
	v_lshrrev_b32_e32 v42, 24, v22
	v_or_b32_sdwa v29, v41, v29 dst_sel:WORD_1 dst_unused:UNUSED_PAD src0_sel:BYTE_0 src1_sel:DWORD
	v_cndmask_b32_e32 v27, 17, v27, vcc_lo
	v_cmp_ne_u32_e32 vcc_lo, 19, v25
	v_or_b32_sdwa v28, v28, v29 dst_sel:DWORD dst_unused:UNUSED_PAD src0_sel:WORD_0 src1_sel:DWORD
	v_lshlrev_b16 v27, 8, v27
	v_cndmask_b32_e32 v41, 17, v42, vcc_lo
	v_cmp_ne_u32_e32 vcc_lo, 16, v25
	v_lshrrev_b32_e32 v42, 16, v22
	v_lshrrev_b32_e32 v29, 8, v20
	v_lshlrev_b16 v41, 8, v41
	v_cndmask_b32_e32 v43, 17, v22, vcc_lo
	v_cmp_ne_u32_e32 vcc_lo, 18, v25
	v_or_b32_sdwa v27, v43, v27 dst_sel:DWORD dst_unused:UNUSED_PAD src0_sel:BYTE_0 src1_sel:DWORD
	v_cndmask_b32_e32 v42, 17, v42, vcc_lo
	v_cmp_ne_u32_e32 vcc_lo, 13, v25
	v_lshrrev_b32_e32 v43, 24, v20
	v_or_b32_sdwa v41, v42, v41 dst_sel:WORD_1 dst_unused:UNUSED_PAD src0_sel:BYTE_0 src1_sel:DWORD
	v_cndmask_b32_e32 v29, 17, v29, vcc_lo
	v_cmp_ne_u32_e32 vcc_lo, 15, v25
	v_or_b32_sdwa v27, v27, v41 dst_sel:DWORD dst_unused:UNUSED_PAD src0_sel:WORD_0 src1_sel:DWORD
	v_lshlrev_b16 v29, 8, v29
	v_cndmask_b32_e32 v42, 17, v43, vcc_lo
	v_cmp_ne_u32_e32 vcc_lo, 12, v25
	v_lshrrev_b32_e32 v41, 24, v24
	v_lshlrev_b16 v42, 8, v42
	v_cndmask_b32_e32 v43, 17, v20, vcc_lo
	v_cmp_ne_u32_e32 vcc_lo, 9, v25
	v_or_b32_sdwa v29, v43, v29 dst_sel:DWORD dst_unused:UNUSED_PAD src0_sel:BYTE_0 src1_sel:DWORD
	v_cndmask_b32_e32 v44, 17, v44, vcc_lo
	v_cmp_ne_u32_e32 vcc_lo, 14, v25
	v_lshlrev_b16 v44, 8, v44
	v_cndmask_b32_e32 v45, 17, v45, vcc_lo
	v_cmp_ne_u32_e32 vcc_lo, 8, v25
	v_or_b32_sdwa v42, v45, v42 dst_sel:WORD_1 dst_unused:UNUSED_PAD src0_sel:BYTE_0 src1_sel:DWORD
	v_cndmask_b32_e32 v46, 17, v24, vcc_lo
	v_cmp_ne_u32_e32 vcc_lo, 11, v25
	v_lshrrev_b32_e32 v45, 24, v23
	v_or_b32_sdwa v29, v29, v42 dst_sel:DWORD dst_unused:UNUSED_PAD src0_sel:WORD_0 src1_sel:DWORD
	v_or_b32_sdwa v43, v46, v44 dst_sel:DWORD dst_unused:UNUSED_PAD src0_sel:BYTE_0 src1_sel:DWORD
	v_lshrrev_b32_e32 v44, 8, v23
	v_cndmask_b32_e32 v41, 17, v41, vcc_lo
	v_cmp_ne_u32_e32 vcc_lo, 5, v25
	v_lshrrev_b32_e32 v46, 16, v24
	v_lshlrev_b16 v41, 8, v41
	v_cndmask_b32_e32 v44, 17, v44, vcc_lo
	v_cmp_ne_u32_e32 vcc_lo, 7, v25
	v_lshlrev_b16 v44, 8, v44
	v_cndmask_b32_e32 v45, 17, v45, vcc_lo
	v_cmp_ne_u32_e32 vcc_lo, 4, v25
	;; [unrolled: 3-line block ×3, first 2 shown]
	v_or_b32_sdwa v44, v48, v44 dst_sel:DWORD dst_unused:UNUSED_PAD src0_sel:BYTE_0 src1_sel:DWORD
	v_cndmask_b32_e32 v47, 17, v47, vcc_lo
	v_cmp_ne_u32_e32 vcc_lo, 10, v25
	v_or_b32_sdwa v45, v47, v45 dst_sel:WORD_1 dst_unused:UNUSED_PAD src0_sel:BYTE_0 src1_sel:DWORD
	v_cndmask_b32_e32 v46, 17, v46, vcc_lo
	v_bfe_u32 v47, v18, 17, 1
	v_cmp_eq_u32_e32 vcc_lo, 0, v40
	v_or_b32_sdwa v40, v44, v45 dst_sel:DWORD dst_unused:UNUSED_PAD src0_sel:WORD_0 src1_sel:DWORD
	v_add_nc_u32_e32 v25, v25, v47
	v_cndmask_b32_e32 v21, v26, v21, vcc_lo
	v_or_b32_sdwa v26, v46, v41 dst_sel:WORD_1 dst_unused:UNUSED_PAD src0_sel:BYTE_0 src1_sel:DWORD
	v_cndmask_b32_e32 v23, v40, v23, vcc_lo
	v_cndmask_b32_e32 v19, v28, v19, vcc_lo
	v_cmp_ne_u32_e64 s4, 1, v25
	v_lshrrev_b32_e32 v41, 8, v21
	v_lshrrev_b32_e32 v42, 24, v21
	v_or_b32_sdwa v26, v43, v26 dst_sel:DWORD dst_unused:UNUSED_PAD src0_sel:WORD_0 src1_sel:DWORD
	v_cndmask_b32_e32 v20, v29, v20, vcc_lo
	v_cndmask_b32_e32 v22, v27, v22, vcc_lo
	v_cndmask_b32_e64 v40, 18, v41, s4
	v_cmp_ne_u32_e64 s4, 3, v25
	v_cndmask_b32_e32 v24, v26, v24, vcc_lo
	v_lshrrev_b32_e32 v27, 8, v19
	v_cmp_ne_u32_e32 vcc_lo, 21, v25
	v_lshlrev_b16 v40, 8, v40
	v_cndmask_b32_e64 v41, 18, v42, s4
	v_cmp_ne_u32_e64 s4, 0, v25
	v_lshrrev_b32_e32 v42, 16, v21
	v_cndmask_b32_e32 v27, 18, v27, vcc_lo
	v_cmp_ne_u32_e32 vcc_lo, 23, v25
	v_lshlrev_b16 v41, 8, v41
	v_cndmask_b32_e64 v43, 18, v21, s4
	v_cmp_ne_u32_e64 s4, 2, v25
	v_and_b32_e32 v29, 0x40000, v18
	v_lshlrev_b16 v27, 8, v27
	v_lshrrev_b32_e32 v44, 24, v20
	v_or_b32_sdwa v26, v43, v40 dst_sel:DWORD dst_unused:UNUSED_PAD src0_sel:BYTE_0 src1_sel:DWORD
	v_cndmask_b32_e64 v42, 18, v42, s4
	v_lshrrev_b32_e32 v40, 24, v19
	v_cmp_ne_u32_e64 s4, 17, v25
	v_lshrrev_b32_e32 v43, 16, v22
	v_lshrrev_b32_e32 v47, 16, v24
	v_or_b32_sdwa v28, v42, v41 dst_sel:WORD_1 dst_unused:UNUSED_PAD src0_sel:BYTE_0 src1_sel:DWORD
	v_lshrrev_b32_e32 v42, 8, v20
	v_lshrrev_b32_e32 v48, 8, v23
	v_lshrrev_b32_e32 v49, 24, v23
	v_lshrrev_b32_e32 v50, 16, v23
	v_or_b32_sdwa v26, v26, v28 dst_sel:DWORD dst_unused:UNUSED_PAD src0_sel:WORD_0 src1_sel:DWORD
	v_cndmask_b32_e32 v28, 18, v40, vcc_lo
	v_cmp_ne_u32_e32 vcc_lo, 20, v25
	v_lshrrev_b32_e32 v40, 16, v19
	v_lshlrev_b16 v28, 8, v28
	v_cndmask_b32_e32 v41, 18, v19, vcc_lo
	v_cmp_ne_u32_e32 vcc_lo, 22, v25
	v_or_b32_sdwa v27, v41, v27 dst_sel:DWORD dst_unused:UNUSED_PAD src0_sel:BYTE_0 src1_sel:DWORD
	v_cndmask_b32_e32 v40, 18, v40, vcc_lo
	v_cmp_eq_u32_e32 vcc_lo, 0, v29
	v_lshrrev_b32_e32 v29, 8, v22
	v_lshrrev_b32_e32 v41, 24, v22
	v_or_b32_sdwa v28, v40, v28 dst_sel:WORD_1 dst_unused:UNUSED_PAD src0_sel:BYTE_0 src1_sel:DWORD
	v_cndmask_b32_e32 v21, v26, v21, vcc_lo
	v_cndmask_b32_e64 v29, 18, v29, s4
	v_cmp_ne_u32_e64 s4, 19, v25
	v_or_b32_sdwa v27, v27, v28 dst_sel:DWORD dst_unused:UNUSED_PAD src0_sel:WORD_0 src1_sel:DWORD
	v_lshrrev_b32_e32 v26, 8, v21
	v_lshlrev_b16 v29, 8, v29
	v_cndmask_b32_e64 v40, 18, v41, s4
	v_cmp_ne_u32_e64 s4, 16, v25
	v_cndmask_b32_e32 v19, v27, v19, vcc_lo
	v_lshlrev_b16 v40, 8, v40
	v_cndmask_b32_e64 v41, 18, v22, s4
	v_cmp_ne_u32_e64 s4, 13, v25
	v_or_b32_sdwa v29, v41, v29 dst_sel:DWORD dst_unused:UNUSED_PAD src0_sel:BYTE_0 src1_sel:DWORD
	v_cndmask_b32_e64 v42, 18, v42, s4
	v_cmp_ne_u32_e64 s4, 18, v25
	v_lshlrev_b16 v42, 8, v42
	v_cndmask_b32_e64 v43, 18, v43, s4
	v_cmp_ne_u32_e64 s4, 12, v25
	v_or_b32_sdwa v40, v43, v40 dst_sel:WORD_1 dst_unused:UNUSED_PAD src0_sel:BYTE_0 src1_sel:DWORD
	v_cndmask_b32_e64 v45, 18, v20, s4
	v_cmp_ne_u32_e64 s4, 15, v25
	v_or_b32_sdwa v28, v29, v40 dst_sel:DWORD dst_unused:UNUSED_PAD src0_sel:WORD_0 src1_sel:DWORD
	v_or_b32_sdwa v41, v45, v42 dst_sel:DWORD dst_unused:UNUSED_PAD src0_sel:BYTE_0 src1_sel:DWORD
	v_cndmask_b32_e64 v44, 18, v44, s4
	v_lshrrev_b32_e32 v42, 8, v24
	v_cmp_ne_u32_e64 s4, 9, v25
	v_lshrrev_b32_e32 v45, 16, v20
	v_cndmask_b32_e32 v22, v28, v22, vcc_lo
	v_lshlrev_b16 v43, 8, v44
	v_lshrrev_b32_e32 v44, 24, v24
	v_cndmask_b32_e64 v42, 18, v42, s4
	v_cmp_ne_u32_e64 s4, 11, v25
	v_lshrrev_b32_e32 v28, 24, v21
	v_lshlrev_b16 v42, 8, v42
	v_cndmask_b32_e64 v44, 18, v44, s4
	v_cmp_ne_u32_e64 s4, 8, v25
	v_lshlrev_b16 v44, 8, v44
	v_cndmask_b32_e64 v46, 18, v24, s4
	v_cmp_ne_u32_e64 s4, 10, v25
	v_or_b32_sdwa v42, v46, v42 dst_sel:DWORD dst_unused:UNUSED_PAD src0_sel:BYTE_0 src1_sel:DWORD
	v_cndmask_b32_e64 v47, 18, v47, s4
	v_cmp_ne_u32_e64 s4, 5, v25
	v_or_b32_sdwa v44, v47, v44 dst_sel:WORD_1 dst_unused:UNUSED_PAD src0_sel:BYTE_0 src1_sel:DWORD
	v_cndmask_b32_e64 v48, 18, v48, s4
	v_cmp_ne_u32_e64 s4, 7, v25
	v_or_b32_sdwa v40, v42, v44 dst_sel:DWORD dst_unused:UNUSED_PAD src0_sel:WORD_0 src1_sel:DWORD
	v_lshlrev_b16 v48, 8, v48
	v_cndmask_b32_e64 v49, 18, v49, s4
	v_cmp_ne_u32_e64 s4, 4, v25
	v_bfe_u32 v42, v18, 18, 1
	v_cndmask_b32_e32 v24, v40, v24, vcc_lo
	v_and_b32_e32 v40, 0x80000, v18
	v_lshlrev_b16 v49, 8, v49
	v_cndmask_b32_e64 v51, 18, v23, s4
	v_cmp_ne_u32_e64 s4, 6, v25
	v_lshrrev_b32_e32 v44, 8, v24
	v_or_b32_sdwa v46, v51, v48 dst_sel:DWORD dst_unused:UNUSED_PAD src0_sel:BYTE_0 src1_sel:DWORD
	v_cndmask_b32_e64 v50, 18, v50, s4
	v_cmp_ne_u32_e64 s4, 14, v25
	v_add_nc_u32_e32 v25, v25, v42
	v_or_b32_sdwa v48, v50, v49 dst_sel:WORD_1 dst_unused:UNUSED_PAD src0_sel:BYTE_0 src1_sel:DWORD
	v_cndmask_b32_e64 v45, 18, v45, s4
	v_or_b32_sdwa v29, v46, v48 dst_sel:DWORD dst_unused:UNUSED_PAD src0_sel:WORD_0 src1_sel:DWORD
	v_or_b32_sdwa v43, v45, v43 dst_sel:WORD_1 dst_unused:UNUSED_PAD src0_sel:BYTE_0 src1_sel:DWORD
	v_cndmask_b32_e32 v23, v29, v23, vcc_lo
	v_or_b32_sdwa v41, v41, v43 dst_sel:DWORD dst_unused:UNUSED_PAD src0_sel:WORD_0 src1_sel:DWORD
	v_lshrrev_b32_e32 v47, 16, v23
	v_cndmask_b32_e32 v20, v41, v20, vcc_lo
	v_cmp_ne_u32_e32 vcc_lo, 1, v25
	v_lshrrev_b32_e32 v41, 8, v19
	v_lshrrev_b32_e32 v45, 16, v20
	v_cndmask_b32_e32 v26, 19, v26, vcc_lo
	v_cmp_ne_u32_e32 vcc_lo, 3, v25
	v_lshlrev_b16 v26, 8, v26
	v_cndmask_b32_e32 v27, 19, v28, vcc_lo
	v_cmp_ne_u32_e32 vcc_lo, 0, v25
	v_lshrrev_b32_e32 v28, 16, v21
	v_lshlrev_b16 v27, 8, v27
	v_cndmask_b32_e32 v29, 19, v21, vcc_lo
	v_cmp_ne_u32_e32 vcc_lo, 2, v25
	v_or_b32_sdwa v26, v29, v26 dst_sel:DWORD dst_unused:UNUSED_PAD src0_sel:BYTE_0 src1_sel:DWORD
	v_cndmask_b32_e32 v28, 19, v28, vcc_lo
	v_cmp_ne_u32_e32 vcc_lo, 21, v25
	v_lshrrev_b32_e32 v29, 24, v19
	v_or_b32_sdwa v27, v28, v27 dst_sel:WORD_1 dst_unused:UNUSED_PAD src0_sel:BYTE_0 src1_sel:DWORD
	v_cndmask_b32_e32 v28, 19, v41, vcc_lo
	v_cmp_ne_u32_e32 vcc_lo, 23, v25
	v_lshrrev_b32_e32 v41, 16, v19
	v_or_b32_sdwa v26, v26, v27 dst_sel:DWORD dst_unused:UNUSED_PAD src0_sel:WORD_0 src1_sel:DWORD
	v_lshlrev_b16 v28, 8, v28
	v_cndmask_b32_e32 v29, 19, v29, vcc_lo
	v_cmp_ne_u32_e32 vcc_lo, 20, v25
	v_lshrrev_b32_e32 v27, 8, v22
	v_lshlrev_b16 v29, 8, v29
	v_cndmask_b32_e32 v42, 19, v19, vcc_lo
	v_cmp_ne_u32_e32 vcc_lo, 22, v25
	v_or_b32_sdwa v28, v42, v28 dst_sel:DWORD dst_unused:UNUSED_PAD src0_sel:BYTE_0 src1_sel:DWORD
	v_cndmask_b32_e32 v41, 19, v41, vcc_lo
	v_cmp_ne_u32_e32 vcc_lo, 17, v25
	v_lshrrev_b32_e32 v42, 24, v22
	v_or_b32_sdwa v29, v41, v29 dst_sel:WORD_1 dst_unused:UNUSED_PAD src0_sel:BYTE_0 src1_sel:DWORD
	v_cndmask_b32_e32 v27, 19, v27, vcc_lo
	v_cmp_ne_u32_e32 vcc_lo, 19, v25
	v_or_b32_sdwa v28, v28, v29 dst_sel:DWORD dst_unused:UNUSED_PAD src0_sel:WORD_0 src1_sel:DWORD
	v_lshlrev_b16 v27, 8, v27
	v_cndmask_b32_e32 v41, 19, v42, vcc_lo
	v_cmp_ne_u32_e32 vcc_lo, 16, v25
	v_lshrrev_b32_e32 v42, 16, v22
	v_lshrrev_b32_e32 v29, 8, v20
	v_lshlrev_b16 v41, 8, v41
	v_cndmask_b32_e32 v43, 19, v22, vcc_lo
	v_cmp_ne_u32_e32 vcc_lo, 18, v25
	v_or_b32_sdwa v27, v43, v27 dst_sel:DWORD dst_unused:UNUSED_PAD src0_sel:BYTE_0 src1_sel:DWORD
	v_cndmask_b32_e32 v42, 19, v42, vcc_lo
	v_cmp_ne_u32_e32 vcc_lo, 13, v25
	v_lshrrev_b32_e32 v43, 24, v20
	v_or_b32_sdwa v41, v42, v41 dst_sel:WORD_1 dst_unused:UNUSED_PAD src0_sel:BYTE_0 src1_sel:DWORD
	v_cndmask_b32_e32 v29, 19, v29, vcc_lo
	v_cmp_ne_u32_e32 vcc_lo, 15, v25
	v_or_b32_sdwa v27, v27, v41 dst_sel:DWORD dst_unused:UNUSED_PAD src0_sel:WORD_0 src1_sel:DWORD
	v_lshlrev_b16 v29, 8, v29
	v_cndmask_b32_e32 v42, 19, v43, vcc_lo
	v_cmp_ne_u32_e32 vcc_lo, 12, v25
	v_lshrrev_b32_e32 v41, 24, v24
	v_lshlrev_b16 v42, 8, v42
	v_cndmask_b32_e32 v43, 19, v20, vcc_lo
	v_cmp_ne_u32_e32 vcc_lo, 9, v25
	v_or_b32_sdwa v29, v43, v29 dst_sel:DWORD dst_unused:UNUSED_PAD src0_sel:BYTE_0 src1_sel:DWORD
	v_cndmask_b32_e32 v44, 19, v44, vcc_lo
	v_cmp_ne_u32_e32 vcc_lo, 14, v25
	v_lshlrev_b16 v44, 8, v44
	v_cndmask_b32_e32 v45, 19, v45, vcc_lo
	v_cmp_ne_u32_e32 vcc_lo, 8, v25
	v_or_b32_sdwa v42, v45, v42 dst_sel:WORD_1 dst_unused:UNUSED_PAD src0_sel:BYTE_0 src1_sel:DWORD
	v_cndmask_b32_e32 v46, 19, v24, vcc_lo
	v_cmp_ne_u32_e32 vcc_lo, 11, v25
	v_lshrrev_b32_e32 v45, 24, v23
	v_or_b32_sdwa v29, v29, v42 dst_sel:DWORD dst_unused:UNUSED_PAD src0_sel:WORD_0 src1_sel:DWORD
	v_or_b32_sdwa v43, v46, v44 dst_sel:DWORD dst_unused:UNUSED_PAD src0_sel:BYTE_0 src1_sel:DWORD
	v_lshrrev_b32_e32 v44, 8, v23
	v_cndmask_b32_e32 v41, 19, v41, vcc_lo
	v_cmp_ne_u32_e32 vcc_lo, 5, v25
	v_lshrrev_b32_e32 v46, 16, v24
	v_lshlrev_b16 v41, 8, v41
	v_cndmask_b32_e32 v44, 19, v44, vcc_lo
	v_cmp_ne_u32_e32 vcc_lo, 7, v25
	v_lshlrev_b16 v44, 8, v44
	v_cndmask_b32_e32 v45, 19, v45, vcc_lo
	v_cmp_ne_u32_e32 vcc_lo, 4, v25
	v_lshlrev_b16 v45, 8, v45
	v_cndmask_b32_e32 v48, 19, v23, vcc_lo
	v_cmp_ne_u32_e32 vcc_lo, 6, v25
	v_or_b32_sdwa v44, v48, v44 dst_sel:DWORD dst_unused:UNUSED_PAD src0_sel:BYTE_0 src1_sel:DWORD
	v_cndmask_b32_e32 v47, 19, v47, vcc_lo
	v_cmp_ne_u32_e32 vcc_lo, 10, v25
	v_or_b32_sdwa v45, v47, v45 dst_sel:WORD_1 dst_unused:UNUSED_PAD src0_sel:BYTE_0 src1_sel:DWORD
	v_cndmask_b32_e32 v46, 19, v46, vcc_lo
	v_bfe_u32 v47, v18, 19, 1
	v_cmp_eq_u32_e32 vcc_lo, 0, v40
	v_or_b32_sdwa v40, v44, v45 dst_sel:DWORD dst_unused:UNUSED_PAD src0_sel:WORD_0 src1_sel:DWORD
	v_add_nc_u32_e32 v25, v25, v47
	v_cndmask_b32_e32 v21, v26, v21, vcc_lo
	v_or_b32_sdwa v26, v46, v41 dst_sel:WORD_1 dst_unused:UNUSED_PAD src0_sel:BYTE_0 src1_sel:DWORD
	v_cndmask_b32_e32 v23, v40, v23, vcc_lo
	v_cndmask_b32_e32 v19, v28, v19, vcc_lo
	v_cmp_ne_u32_e64 s4, 1, v25
	v_lshrrev_b32_e32 v41, 8, v21
	v_lshrrev_b32_e32 v42, 24, v21
	v_or_b32_sdwa v26, v43, v26 dst_sel:DWORD dst_unused:UNUSED_PAD src0_sel:WORD_0 src1_sel:DWORD
	v_cndmask_b32_e32 v20, v29, v20, vcc_lo
	v_cndmask_b32_e32 v22, v27, v22, vcc_lo
	v_cndmask_b32_e64 v40, 20, v41, s4
	v_cmp_ne_u32_e64 s4, 3, v25
	v_cndmask_b32_e32 v24, v26, v24, vcc_lo
	v_lshrrev_b32_e32 v27, 8, v19
	v_cmp_ne_u32_e32 vcc_lo, 21, v25
	v_lshlrev_b16 v40, 8, v40
	v_cndmask_b32_e64 v41, 20, v42, s4
	v_cmp_ne_u32_e64 s4, 0, v25
	v_lshrrev_b32_e32 v42, 16, v21
	v_cndmask_b32_e32 v27, 20, v27, vcc_lo
	v_cmp_ne_u32_e32 vcc_lo, 23, v25
	v_lshlrev_b16 v41, 8, v41
	v_cndmask_b32_e64 v43, 20, v21, s4
	v_cmp_ne_u32_e64 s4, 2, v25
	v_and_b32_e32 v29, 0x100000, v18
	v_lshlrev_b16 v27, 8, v27
	v_lshrrev_b32_e32 v44, 24, v24
	v_or_b32_sdwa v26, v43, v40 dst_sel:DWORD dst_unused:UNUSED_PAD src0_sel:BYTE_0 src1_sel:DWORD
	v_cndmask_b32_e64 v42, 20, v42, s4
	v_lshrrev_b32_e32 v40, 24, v19
	v_cmp_ne_u32_e64 s4, 17, v25
	v_lshrrev_b32_e32 v43, 8, v24
	v_lshrrev_b32_e32 v47, 16, v24
	v_or_b32_sdwa v28, v42, v41 dst_sel:WORD_1 dst_unused:UNUSED_PAD src0_sel:BYTE_0 src1_sel:DWORD
	v_lshrrev_b32_e32 v48, 8, v23
	v_lshrrev_b32_e32 v49, 24, v23
	v_lshrrev_b32_e32 v50, 16, v23
	v_lshrrev_b32_e32 v45, 16, v20
	v_or_b32_sdwa v26, v26, v28 dst_sel:DWORD dst_unused:UNUSED_PAD src0_sel:WORD_0 src1_sel:DWORD
	v_cndmask_b32_e32 v28, 20, v40, vcc_lo
	v_cmp_ne_u32_e32 vcc_lo, 20, v25
	v_lshrrev_b32_e32 v40, 16, v19
	v_lshlrev_b16 v28, 8, v28
	v_cndmask_b32_e32 v41, 20, v19, vcc_lo
	v_cmp_ne_u32_e32 vcc_lo, 22, v25
	v_or_b32_sdwa v27, v41, v27 dst_sel:DWORD dst_unused:UNUSED_PAD src0_sel:BYTE_0 src1_sel:DWORD
	v_cndmask_b32_e32 v40, 20, v40, vcc_lo
	v_cmp_eq_u32_e32 vcc_lo, 0, v29
	v_lshrrev_b32_e32 v29, 8, v22
	v_lshrrev_b32_e32 v41, 24, v22
	v_or_b32_sdwa v28, v40, v28 dst_sel:WORD_1 dst_unused:UNUSED_PAD src0_sel:BYTE_0 src1_sel:DWORD
	v_cndmask_b32_e32 v21, v26, v21, vcc_lo
	v_cndmask_b32_e64 v29, 20, v29, s4
	v_cmp_ne_u32_e64 s4, 19, v25
	v_or_b32_sdwa v27, v27, v28 dst_sel:DWORD dst_unused:UNUSED_PAD src0_sel:WORD_0 src1_sel:DWORD
	v_lshrrev_b32_e32 v28, 8, v20
	v_lshlrev_b16 v29, 8, v29
	v_cndmask_b32_e64 v40, 20, v41, s4
	v_cmp_ne_u32_e64 s4, 16, v25
	v_lshrrev_b32_e32 v41, 16, v22
	v_cndmask_b32_e32 v19, v27, v19, vcc_lo
	v_lshlrev_b16 v40, 8, v40
	v_cndmask_b32_e64 v42, 20, v22, s4
	v_cmp_ne_u32_e64 s4, 18, v25
	v_or_b32_sdwa v29, v42, v29 dst_sel:DWORD dst_unused:UNUSED_PAD src0_sel:BYTE_0 src1_sel:DWORD
	v_cndmask_b32_e64 v41, 20, v41, s4
	v_cmp_ne_u32_e64 s4, 13, v25
	v_lshrrev_b32_e32 v42, 24, v20
	v_or_b32_sdwa v40, v41, v40 dst_sel:WORD_1 dst_unused:UNUSED_PAD src0_sel:BYTE_0 src1_sel:DWORD
	v_cndmask_b32_e64 v28, 20, v28, s4
	v_cmp_ne_u32_e64 s4, 15, v25
	v_or_b32_sdwa v29, v29, v40 dst_sel:DWORD dst_unused:UNUSED_PAD src0_sel:WORD_0 src1_sel:DWORD
	v_lshlrev_b16 v28, 8, v28
	v_cndmask_b32_e64 v41, 20, v42, s4
	v_cmp_ne_u32_e64 s4, 12, v25
	v_cndmask_b32_e32 v22, v29, v22, vcc_lo
	v_lshrrev_b32_e32 v29, 24, v19
	v_lshlrev_b16 v41, 8, v41
	v_cndmask_b32_e64 v42, 20, v20, s4
	v_cmp_ne_u32_e64 s4, 9, v25
	v_or_b32_sdwa v28, v42, v28 dst_sel:DWORD dst_unused:UNUSED_PAD src0_sel:BYTE_0 src1_sel:DWORD
	v_cndmask_b32_e64 v43, 20, v43, s4
	v_cmp_ne_u32_e64 s4, 11, v25
	v_lshlrev_b16 v43, 8, v43
	v_cndmask_b32_e64 v44, 20, v44, s4
	v_cmp_ne_u32_e64 s4, 8, v25
	v_lshlrev_b16 v44, 8, v44
	v_cndmask_b32_e64 v46, 20, v24, s4
	v_cmp_ne_u32_e64 s4, 10, v25
	v_or_b32_sdwa v43, v46, v43 dst_sel:DWORD dst_unused:UNUSED_PAD src0_sel:BYTE_0 src1_sel:DWORD
	v_cndmask_b32_e64 v47, 20, v47, s4
	v_cmp_ne_u32_e64 s4, 5, v25
	v_or_b32_sdwa v44, v47, v44 dst_sel:WORD_1 dst_unused:UNUSED_PAD src0_sel:BYTE_0 src1_sel:DWORD
	v_cndmask_b32_e64 v48, 20, v48, s4
	v_cmp_ne_u32_e64 s4, 7, v25
	v_or_b32_sdwa v42, v43, v44 dst_sel:DWORD dst_unused:UNUSED_PAD src0_sel:WORD_0 src1_sel:DWORD
	v_bfe_u32 v43, v18, 20, 1
	v_cndmask_b32_e64 v49, 20, v49, s4
	v_cmp_ne_u32_e64 s4, 4, v25
	v_lshlrev_b16 v48, 8, v48
	v_cndmask_b32_e32 v24, v42, v24, vcc_lo
	v_lshrrev_b32_e32 v42, 24, v22
	v_lshlrev_b16 v49, 8, v49
	v_cndmask_b32_e64 v51, 20, v23, s4
	v_cmp_ne_u32_e64 s4, 6, v25
	v_lshrrev_b32_e32 v44, 16, v22
	v_or_b32_sdwa v46, v51, v48 dst_sel:DWORD dst_unused:UNUSED_PAD src0_sel:BYTE_0 src1_sel:DWORD
	v_cndmask_b32_e64 v50, 20, v50, s4
	v_cmp_ne_u32_e64 s4, 14, v25
	v_add_nc_u32_e32 v25, v25, v43
	v_or_b32_sdwa v48, v50, v49 dst_sel:WORD_1 dst_unused:UNUSED_PAD src0_sel:BYTE_0 src1_sel:DWORD
	v_cndmask_b32_e64 v45, 20, v45, s4
	v_cmp_ne_u32_e64 s4, 1, v25
	v_or_b32_sdwa v40, v45, v41 dst_sel:WORD_1 dst_unused:UNUSED_PAD src0_sel:BYTE_0 src1_sel:DWORD
	v_or_b32_sdwa v41, v46, v48 dst_sel:DWORD dst_unused:UNUSED_PAD src0_sel:WORD_0 src1_sel:DWORD
	v_lshrrev_b32_e32 v48, 16, v24
	v_or_b32_sdwa v26, v28, v40 dst_sel:DWORD dst_unused:UNUSED_PAD src0_sel:WORD_0 src1_sel:DWORD
	v_lshrrev_b32_e32 v28, 8, v21
	v_cndmask_b32_e32 v23, v41, v23, vcc_lo
	v_lshrrev_b32_e32 v40, 16, v21
	v_lshrrev_b32_e32 v41, 8, v19
	v_cndmask_b32_e32 v20, v26, v20, vcc_lo
	v_lshrrev_b32_e32 v26, 24, v21
	v_cndmask_b32_e64 v27, 21, v28, s4
	v_cmp_ne_u32_e64 s4, 3, v25
	v_cmp_ne_u32_e32 vcc_lo, 21, v25
	v_lshrrev_b32_e32 v45, 8, v20
	v_lshrrev_b32_e32 v46, 8, v23
	v_lshlrev_b16 v27, 8, v27
	v_cndmask_b32_e64 v26, 21, v26, s4
	v_cmp_ne_u32_e64 s4, 0, v25
	v_lshrrev_b32_e32 v47, 24, v23
	v_lshrrev_b32_e32 v49, 16, v23
	v_lshlrev_b16 v26, 8, v26
	v_cndmask_b32_e64 v28, 21, v21, s4
	v_cmp_ne_u32_e64 s4, 2, v25
	v_or_b32_sdwa v27, v28, v27 dst_sel:DWORD dst_unused:UNUSED_PAD src0_sel:BYTE_0 src1_sel:DWORD
	v_cndmask_b32_e64 v40, 21, v40, s4
	v_cndmask_b32_e32 v28, 21, v41, vcc_lo
	v_cmp_ne_u32_e32 vcc_lo, 20, v25
	v_and_b32_e32 v41, 0x200000, v18
	v_or_b32_sdwa v26, v40, v26 dst_sel:WORD_1 dst_unused:UNUSED_PAD src0_sel:BYTE_0 src1_sel:DWORD
	v_lshlrev_b16 v28, 8, v28
	v_cndmask_b32_e32 v40, 21, v19, vcc_lo
	v_cmp_ne_u32_e32 vcc_lo, 23, v25
	v_or_b32_sdwa v26, v27, v26 dst_sel:DWORD dst_unused:UNUSED_PAD src0_sel:WORD_0 src1_sel:DWORD
	v_or_b32_sdwa v27, v40, v28 dst_sel:DWORD dst_unused:UNUSED_PAD src0_sel:BYTE_0 src1_sel:DWORD
	v_cndmask_b32_e32 v29, 21, v29, vcc_lo
	v_lshrrev_b32_e32 v28, 16, v19
	v_cmp_ne_u32_e32 vcc_lo, 22, v25
	v_lshrrev_b32_e32 v40, 8, v22
	v_lshlrev_b16 v29, 8, v29
	v_cndmask_b32_e32 v28, 21, v28, vcc_lo
	v_cmp_ne_u32_e32 vcc_lo, 17, v25
	v_or_b32_sdwa v28, v28, v29 dst_sel:WORD_1 dst_unused:UNUSED_PAD src0_sel:BYTE_0 src1_sel:DWORD
	v_cndmask_b32_e32 v40, 21, v40, vcc_lo
	v_cmp_ne_u32_e32 vcc_lo, 19, v25
	v_or_b32_sdwa v27, v27, v28 dst_sel:DWORD dst_unused:UNUSED_PAD src0_sel:WORD_0 src1_sel:DWORD
	v_lshlrev_b16 v40, 8, v40
	v_cndmask_b32_e32 v42, 21, v42, vcc_lo
	v_cmp_ne_u32_e32 vcc_lo, 16, v25
	v_lshlrev_b16 v42, 8, v42
	v_cndmask_b32_e32 v43, 21, v22, vcc_lo
	v_cmp_ne_u32_e32 vcc_lo, 18, v25
	v_or_b32_sdwa v29, v43, v40 dst_sel:DWORD dst_unused:UNUSED_PAD src0_sel:BYTE_0 src1_sel:DWORD
	v_cndmask_b32_e32 v44, 21, v44, vcc_lo
	v_cmp_ne_u32_e32 vcc_lo, 13, v25
	v_lshrrev_b32_e32 v43, 24, v20
	v_or_b32_sdwa v42, v44, v42 dst_sel:WORD_1 dst_unused:UNUSED_PAD src0_sel:BYTE_0 src1_sel:DWORD
	v_cndmask_b32_e32 v40, 21, v45, vcc_lo
	v_cmp_ne_u32_e32 vcc_lo, 12, v25
	v_or_b32_sdwa v28, v29, v42 dst_sel:DWORD dst_unused:UNUSED_PAD src0_sel:WORD_0 src1_sel:DWORD
	v_lshlrev_b16 v40, 8, v40
	v_cndmask_b32_e32 v44, 21, v20, vcc_lo
	v_cmp_ne_u32_e32 vcc_lo, 15, v25
	v_or_b32_sdwa v29, v44, v40 dst_sel:DWORD dst_unused:UNUSED_PAD src0_sel:BYTE_0 src1_sel:DWORD
	v_cndmask_b32_e32 v43, 21, v43, vcc_lo
	v_lshrrev_b32_e32 v40, 16, v20
	v_cmp_ne_u32_e32 vcc_lo, 14, v25
	v_lshrrev_b32_e32 v44, 24, v24
	v_lshlrev_b16 v42, 8, v43
	v_lshrrev_b32_e32 v43, 8, v24
	v_cndmask_b32_e32 v40, 21, v40, vcc_lo
	v_cmp_ne_u32_e32 vcc_lo, 9, v25
	v_or_b32_sdwa v40, v40, v42 dst_sel:WORD_1 dst_unused:UNUSED_PAD src0_sel:BYTE_0 src1_sel:DWORD
	v_cndmask_b32_e32 v43, 21, v43, vcc_lo
	v_cmp_ne_u32_e32 vcc_lo, 11, v25
	v_or_b32_sdwa v29, v29, v40 dst_sel:DWORD dst_unused:UNUSED_PAD src0_sel:WORD_0 src1_sel:DWORD
	v_lshlrev_b16 v43, 8, v43
	v_cndmask_b32_e32 v44, 21, v44, vcc_lo
	v_cmp_ne_u32_e32 vcc_lo, 8, v25
	v_lshlrev_b16 v44, 8, v44
	v_cndmask_b32_e32 v45, 21, v24, vcc_lo
	v_cmp_ne_u32_e32 vcc_lo, 5, v25
	v_or_b32_sdwa v42, v45, v43 dst_sel:DWORD dst_unused:UNUSED_PAD src0_sel:BYTE_0 src1_sel:DWORD
	v_cndmask_b32_e32 v46, 21, v46, vcc_lo
	v_cmp_ne_u32_e32 vcc_lo, 7, v25
	v_lshlrev_b16 v46, 8, v46
	v_cndmask_b32_e32 v47, 21, v47, vcc_lo
	v_cmp_ne_u32_e32 vcc_lo, 4, v25
	v_lshlrev_b16 v47, 8, v47
	v_cndmask_b32_e32 v50, 21, v23, vcc_lo
	v_cmp_ne_u32_e32 vcc_lo, 6, v25
	v_or_b32_sdwa v43, v50, v46 dst_sel:DWORD dst_unused:UNUSED_PAD src0_sel:BYTE_0 src1_sel:DWORD
	v_cndmask_b32_e32 v49, 21, v49, vcc_lo
	v_cmp_ne_u32_e32 vcc_lo, 10, v25
	v_bfe_u32 v46, v18, 21, 1
	v_or_b32_sdwa v45, v49, v47 dst_sel:WORD_1 dst_unused:UNUSED_PAD src0_sel:BYTE_0 src1_sel:DWORD
	v_cndmask_b32_e32 v48, 21, v48, vcc_lo
	v_cmp_eq_u32_e32 vcc_lo, 0, v41
	v_add_nc_u32_e32 v25, v25, v46
	v_or_b32_sdwa v44, v48, v44 dst_sel:WORD_1 dst_unused:UNUSED_PAD src0_sel:BYTE_0 src1_sel:DWORD
	v_cndmask_b32_e32 v21, v26, v21, vcc_lo
	v_or_b32_sdwa v26, v43, v45 dst_sel:DWORD dst_unused:UNUSED_PAD src0_sel:WORD_0 src1_sel:DWORD
	v_cmp_ne_u32_e64 s4, 1, v25
	v_cndmask_b32_e32 v20, v29, v20, vcc_lo
	v_or_b32_sdwa v41, v42, v44 dst_sel:DWORD dst_unused:UNUSED_PAD src0_sel:WORD_0 src1_sel:DWORD
	v_lshrrev_b32_e32 v40, 8, v21
	v_cndmask_b32_e32 v23, v26, v23, vcc_lo
	v_cndmask_b32_e32 v22, v28, v22, vcc_lo
	;; [unrolled: 1-line block ×4, first 2 shown]
	v_cndmask_b32_e64 v26, 22, v40, s4
	v_cmp_ne_u32_e64 s4, 0, v25
	v_cmp_ne_u32_e32 vcc_lo, 2, v25
	v_lshrrev_b32_e32 v40, 8, v19
	v_lshrrev_b32_e32 v41, 24, v19
	v_lshlrev_b16 v26, 8, v26
	v_cndmask_b32_e64 v29, 22, v21, s4
	v_lshrrev_b32_e32 v28, 24, v21
	v_cmp_ne_u32_e64 s4, 3, v25
	v_lshrrev_b32_e32 v43, 16, v19
	v_lshrrev_b32_e32 v44, 8, v22
	v_or_b32_sdwa v26, v29, v26 dst_sel:DWORD dst_unused:UNUSED_PAD src0_sel:BYTE_0 src1_sel:DWORD
	v_lshrrev_b32_e32 v29, 16, v21
	v_cndmask_b32_e64 v28, 22, v28, s4
	v_lshrrev_b32_e32 v45, 16, v20
	v_lshrrev_b32_e32 v46, 8, v24
	v_and_b32_e32 v27, 0x400000, v18
	v_cndmask_b32_e32 v29, 22, v29, vcc_lo
	v_cmp_ne_u32_e32 vcc_lo, 21, v25
	v_lshlrev_b16 v28, 8, v28
	v_bfe_u32 v48, v18, 22, 1
	v_cndmask_b32_e32 v40, 22, v40, vcc_lo
	v_cmp_ne_u32_e32 vcc_lo, 23, v25
	v_or_b32_sdwa v28, v29, v28 dst_sel:WORD_1 dst_unused:UNUSED_PAD src0_sel:BYTE_0 src1_sel:DWORD
	v_lshlrev_b16 v40, 8, v40
	v_cndmask_b32_e32 v41, 22, v41, vcc_lo
	v_cmp_ne_u32_e32 vcc_lo, 20, v25
	v_or_b32_sdwa v26, v26, v28 dst_sel:DWORD dst_unused:UNUSED_PAD src0_sel:WORD_0 src1_sel:DWORD
	v_lshlrev_b16 v41, 8, v41
	v_cndmask_b32_e32 v42, 22, v19, vcc_lo
	v_cmp_ne_u32_e32 vcc_lo, 22, v25
	v_or_b32_sdwa v29, v42, v40 dst_sel:DWORD dst_unused:UNUSED_PAD src0_sel:BYTE_0 src1_sel:DWORD
	v_cndmask_b32_e32 v43, 22, v43, vcc_lo
	v_cmp_ne_u32_e32 vcc_lo, 17, v25
	v_lshrrev_b32_e32 v42, 24, v22
	v_or_b32_sdwa v41, v43, v41 dst_sel:WORD_1 dst_unused:UNUSED_PAD src0_sel:BYTE_0 src1_sel:DWORD
	v_cndmask_b32_e32 v40, 22, v44, vcc_lo
	v_cmp_ne_u32_e32 vcc_lo, 16, v25
	v_or_b32_sdwa v28, v29, v41 dst_sel:DWORD dst_unused:UNUSED_PAD src0_sel:WORD_0 src1_sel:DWORD
	v_lshlrev_b16 v40, 8, v40
	v_cndmask_b32_e32 v43, 22, v22, vcc_lo
	v_cmp_ne_u32_e32 vcc_lo, 19, v25
	v_or_b32_sdwa v29, v43, v40 dst_sel:DWORD dst_unused:UNUSED_PAD src0_sel:BYTE_0 src1_sel:DWORD
	v_cndmask_b32_e32 v42, 22, v42, vcc_lo
	v_lshrrev_b32_e32 v40, 16, v22
	v_cmp_ne_u32_e32 vcc_lo, 18, v25
	v_lshrrev_b32_e32 v43, 24, v20
	v_lshlrev_b16 v41, 8, v42
	v_lshrrev_b32_e32 v42, 8, v20
	v_cndmask_b32_e32 v40, 22, v40, vcc_lo
	v_cmp_ne_u32_e32 vcc_lo, 13, v25
	v_or_b32_sdwa v40, v40, v41 dst_sel:WORD_1 dst_unused:UNUSED_PAD src0_sel:BYTE_0 src1_sel:DWORD
	v_cndmask_b32_e32 v42, 22, v42, vcc_lo
	v_cmp_ne_u32_e32 vcc_lo, 15, v25
	v_or_b32_sdwa v29, v29, v40 dst_sel:DWORD dst_unused:UNUSED_PAD src0_sel:WORD_0 src1_sel:DWORD
	v_lshlrev_b16 v42, 8, v42
	v_cndmask_b32_e32 v43, 22, v43, vcc_lo
	v_cmp_ne_u32_e32 vcc_lo, 12, v25
	v_lshlrev_b16 v43, 8, v43
	v_cndmask_b32_e32 v44, 22, v20, vcc_lo
	v_cmp_ne_u32_e32 vcc_lo, 14, v25
	v_or_b32_sdwa v41, v44, v42 dst_sel:DWORD dst_unused:UNUSED_PAD src0_sel:BYTE_0 src1_sel:DWORD
	v_cndmask_b32_e32 v45, 22, v45, vcc_lo
	v_cmp_ne_u32_e32 vcc_lo, 9, v25
	v_lshrrev_b32_e32 v44, 24, v24
	v_or_b32_sdwa v43, v45, v43 dst_sel:WORD_1 dst_unused:UNUSED_PAD src0_sel:BYTE_0 src1_sel:DWORD
	v_cndmask_b32_e32 v42, 22, v46, vcc_lo
	v_cmp_ne_u32_e32 vcc_lo, 8, v25
	v_lshrrev_b32_e32 v46, 16, v23
	v_or_b32_sdwa v40, v41, v43 dst_sel:DWORD dst_unused:UNUSED_PAD src0_sel:WORD_0 src1_sel:DWORD
	v_lshlrev_b16 v42, 8, v42
	v_cndmask_b32_e32 v45, 22, v24, vcc_lo
	v_cmp_ne_u32_e32 vcc_lo, 11, v25
	v_or_b32_sdwa v41, v45, v42 dst_sel:DWORD dst_unused:UNUSED_PAD src0_sel:BYTE_0 src1_sel:DWORD
	v_cndmask_b32_e32 v44, 22, v44, vcc_lo
	v_lshrrev_b32_e32 v42, 16, v24
	v_cmp_ne_u32_e32 vcc_lo, 10, v25
	v_lshrrev_b32_e32 v45, 24, v23
	v_lshlrev_b16 v43, 8, v44
	v_lshrrev_b32_e32 v44, 8, v23
	v_cndmask_b32_e32 v42, 22, v42, vcc_lo
	v_cmp_ne_u32_e32 vcc_lo, 5, v25
	v_cndmask_b32_e32 v44, 22, v44, vcc_lo
	v_cmp_ne_u32_e32 vcc_lo, 7, v25
	v_lshlrev_b16 v44, 8, v44
	v_cndmask_b32_e32 v45, 22, v45, vcc_lo
	v_cmp_ne_u32_e32 vcc_lo, 4, v25
	v_lshlrev_b16 v45, 8, v45
	v_cndmask_b32_e32 v47, 22, v23, vcc_lo
	v_cmp_ne_u32_e32 vcc_lo, 6, v25
	v_cndmask_b32_e32 v46, 22, v46, vcc_lo
	v_cmp_eq_u32_e32 vcc_lo, 0, v27
	v_or_b32_sdwa v27, v47, v44 dst_sel:DWORD dst_unused:UNUSED_PAD src0_sel:BYTE_0 src1_sel:DWORD
	v_cndmask_b32_e32 v21, v26, v21, vcc_lo
	v_or_b32_sdwa v26, v42, v43 dst_sel:WORD_1 dst_unused:UNUSED_PAD src0_sel:BYTE_0 src1_sel:DWORD
	v_add_nc_u32_e32 v43, v25, v48
	v_or_b32_sdwa v42, v46, v45 dst_sel:WORD_1 dst_unused:UNUSED_PAD src0_sel:BYTE_0 src1_sel:DWORD
	v_lshrrev_b32_e32 v25, 8, v21
	v_or_b32_sdwa v26, v41, v26 dst_sel:DWORD dst_unused:UNUSED_PAD src0_sel:WORD_0 src1_sel:DWORD
	v_cmp_ne_u32_e64 s4, 1, v43
	v_lshrrev_b32_e32 v41, 24, v21
	v_or_b32_sdwa v27, v27, v42 dst_sel:DWORD dst_unused:UNUSED_PAD src0_sel:WORD_0 src1_sel:DWORD
	v_lshrrev_b32_e32 v42, 16, v21
	v_cndmask_b32_e32 v24, v26, v24, vcc_lo
	v_cndmask_b32_e64 v25, 23, v25, s4
	v_cmp_ne_u32_e64 s4, 3, v43
	v_cndmask_b32_e32 v26, v28, v19, vcc_lo
	v_cndmask_b32_e32 v23, v27, v23, vcc_lo
	;; [unrolled: 1-line block ×3, first 2 shown]
	v_lshlrev_b16 v25, 8, v25
	v_cndmask_b32_e64 v41, 23, v41, s4
	v_cmp_ne_u32_e64 s4, 0, v43
	v_and_b32_e32 v20, 0x800000, v18
	v_cndmask_b32_e32 v28, v29, v22, vcc_lo
	v_lshrrev_b32_e32 v22, 8, v26
	v_lshlrev_b16 v41, 8, v41
	v_cndmask_b32_e64 v44, 23, v21, s4
	v_cmp_ne_u32_e64 s4, 2, v43
	v_cmp_eq_u32_e32 vcc_lo, 0, v20
	v_lshrrev_b32_e32 v29, 8, v28
	v_lshrrev_b32_e32 v40, 16, v26
	v_or_b32_sdwa v19, v44, v25 dst_sel:DWORD dst_unused:UNUSED_PAD src0_sel:BYTE_0 src1_sel:DWORD
	v_cndmask_b32_e64 v42, 23, v42, s4
	v_cmp_ne_u32_e64 s4, 21, v43
	v_lshrrev_b32_e32 v45, 24, v24
	v_lshrrev_b32_e32 v48, 16, v24
	;; [unrolled: 1-line block ×3, first 2 shown]
	v_or_b32_sdwa v25, v42, v41 dst_sel:WORD_1 dst_unused:UNUSED_PAD src0_sel:BYTE_0 src1_sel:DWORD
	v_cndmask_b32_e64 v20, 23, v22, s4
	v_cmp_ne_u32_e64 s4, 23, v43
	v_lshrrev_b32_e32 v41, 24, v28
	v_lshrrev_b32_e32 v50, 24, v23
	v_or_b32_sdwa v19, v19, v25 dst_sel:DWORD dst_unused:UNUSED_PAD src0_sel:WORD_0 src1_sel:DWORD
	v_lshrrev_b32_e32 v25, 24, v26
	v_lshlrev_b16 v20, 8, v20
	v_lshrrev_b32_e32 v51, 16, v23
	v_lshrrev_b32_e32 v46, 16, v27
	v_cndmask_b32_e32 v19, v19, v21, vcc_lo
	v_cndmask_b32_e64 v22, 23, v25, s4
	v_cmp_ne_u32_e64 s4, 20, v43
	v_bfe_u32 v18, v18, 23, 1
	v_lshrrev_b32_e32 v80, 16, v19
	v_lshlrev_b16 v22, 8, v22
	v_cndmask_b32_e64 v25, 23, v26, s4
	v_cmp_ne_u32_e64 s4, 17, v43
	v_lshrrev_b32_e32 v76, 8, v19
	v_or_b32_sdwa v20, v25, v20 dst_sel:DWORD dst_unused:UNUSED_PAD src0_sel:BYTE_0 src1_sel:DWORD
	v_cndmask_b32_e64 v29, 23, v29, s4
	v_cmp_ne_u32_e64 s4, 22, v43
	v_lshrrev_b32_e32 v25, 8, v27
	v_lshlrev_b16 v29, 8, v29
	v_cndmask_b32_e64 v40, 23, v40, s4
	v_cmp_ne_u32_e64 s4, 16, v43
	v_or_b32_sdwa v22, v40, v22 dst_sel:WORD_1 dst_unused:UNUSED_PAD src0_sel:BYTE_0 src1_sel:DWORD
	v_cndmask_b32_e64 v42, 23, v28, s4
	v_cmp_ne_u32_e64 s4, 19, v43
	v_or_b32_sdwa v29, v42, v29 dst_sel:DWORD dst_unused:UNUSED_PAD src0_sel:BYTE_0 src1_sel:DWORD
	v_cndmask_b32_e64 v41, 23, v41, s4
	v_cmp_ne_u32_e64 s4, 13, v43
	v_lshrrev_b32_e32 v42, 24, v27
	v_lshlrev_b16 v40, 8, v41
	v_cndmask_b32_e64 v25, 23, v25, s4
	v_cmp_ne_u32_e64 s4, 12, v43
	v_lshrrev_b32_e32 v41, 16, v28
	v_lshlrev_b16 v25, 8, v25
	v_cndmask_b32_e64 v44, 23, v27, s4
	v_cmp_ne_u32_e64 s4, 15, v43
	v_or_b32_sdwa v25, v44, v25 dst_sel:DWORD dst_unused:UNUSED_PAD src0_sel:BYTE_0 src1_sel:DWORD
	v_cndmask_b32_e64 v42, 23, v42, s4
	v_cmp_ne_u32_e64 s4, 18, v43
	v_lshrrev_b32_e32 v44, 8, v24
	v_lshlrev_b16 v42, 8, v42
	v_cndmask_b32_e64 v41, 23, v41, s4
	v_cmp_ne_u32_e64 s4, 9, v43
	v_or_b32_sdwa v40, v41, v40 dst_sel:WORD_1 dst_unused:UNUSED_PAD src0_sel:BYTE_0 src1_sel:DWORD
	v_cndmask_b32_e64 v44, 23, v44, s4
	v_cmp_ne_u32_e64 s4, 11, v43
	v_or_b32_sdwa v41, v20, v22 dst_sel:DWORD dst_unused:UNUSED_PAD src0_sel:WORD_0 src1_sel:DWORD
	v_or_b32_sdwa v29, v29, v40 dst_sel:DWORD dst_unused:UNUSED_PAD src0_sel:WORD_0 src1_sel:DWORD
	v_lshlrev_b16 v44, 8, v44
	v_cndmask_b32_e64 v45, 23, v45, s4
	v_cmp_ne_u32_e64 s4, 8, v43
	v_lshlrev_b16 v45, 8, v45
	v_cndmask_b32_e64 v47, 23, v24, s4
	v_cmp_ne_u32_e64 s4, 10, v43
	v_or_b32_sdwa v44, v47, v44 dst_sel:DWORD dst_unused:UNUSED_PAD src0_sel:BYTE_0 src1_sel:DWORD
	v_cndmask_b32_e64 v48, 23, v48, s4
	v_cmp_ne_u32_e64 s4, 5, v43
	v_or_b32_sdwa v45, v48, v45 dst_sel:WORD_1 dst_unused:UNUSED_PAD src0_sel:BYTE_0 src1_sel:DWORD
	v_cndmask_b32_e64 v49, 23, v49, s4
	v_cmp_ne_u32_e64 s4, 7, v43
	v_or_b32_sdwa v22, v44, v45 dst_sel:DWORD dst_unused:UNUSED_PAD src0_sel:WORD_0 src1_sel:DWORD
	v_lshlrev_b16 v49, 8, v49
	v_cndmask_b32_e64 v50, 23, v50, s4
	v_cmp_ne_u32_e64 s4, 4, v43
	v_cndmask_b32_e32 v21, v22, v24, vcc_lo
	v_lshlrev_b16 v50, 8, v50
	v_cndmask_b32_e64 v52, 23, v23, s4
	v_cmp_ne_u32_e64 s4, 6, v43
	v_lshrrev_b32_e32 v72, 16, v21
	v_lshrrev_b32_e32 v81, 8, v21
	v_or_b32_sdwa v47, v52, v49 dst_sel:DWORD dst_unused:UNUSED_PAD src0_sel:BYTE_0 src1_sel:DWORD
	v_cndmask_b32_e64 v51, 23, v51, s4
	v_cmp_ne_u32_e64 s4, 14, v43
	v_or_b32_sdwa v49, v51, v50 dst_sel:WORD_1 dst_unused:UNUSED_PAD src0_sel:BYTE_0 src1_sel:DWORD
	v_cndmask_b32_e64 v46, 23, v46, s4
	v_or_b32_sdwa v20, v47, v49 dst_sel:DWORD dst_unused:UNUSED_PAD src0_sel:WORD_0 src1_sel:DWORD
	v_or_b32_sdwa v42, v46, v42 dst_sel:WORD_1 dst_unused:UNUSED_PAD src0_sel:BYTE_0 src1_sel:DWORD
	v_cndmask_b32_e32 v20, v20, v23, vcc_lo
	v_or_b32_sdwa v25, v25, v42 dst_sel:DWORD dst_unused:UNUSED_PAD src0_sel:WORD_0 src1_sel:DWORD
	v_lshrrev_b32_e32 v78, 24, v20
	v_cndmask_b32_e32 v22, v25, v27, vcc_lo
	v_cndmask_b32_e32 v27, v29, v28, vcc_lo
	;; [unrolled: 1-line block ×3, first 2 shown]
	v_lshrrev_b64 v[25:26], 24, v[19:20]
	v_lshrrev_b32_e32 v79, 16, v20
	v_lshrrev_b64 v[23:24], 24, v[21:22]
	v_lshrrev_b32_e32 v77, 8, v20
	;; [unrolled: 2-line block ×3, first 2 shown]
	v_lshrrev_b32_e32 v75, 16, v22
	v_lshrrev_b32_e32 v83, 8, v22
	;; [unrolled: 1-line block ×3, first 2 shown]
	v_add_nc_u32_e32 v41, v43, v18
	v_lshrrev_b32_e32 v85, 8, v27
	v_lshrrev_b32_e32 v84, 24, v28
	;; [unrolled: 1-line block ×4, first 2 shown]
	v_cmpx_ne_u32_e32 0, v41
	s_cbranch_execz .LBB2_314
; %bb.285:
	v_add_f64 v[45:46], v[34:35], v[34:35]
	v_mov_b32_e32 v42, 0
	v_mov_b32_e32 v18, 3
	s_mov_b32 s6, 0x55555555
	s_mov_b64 s[4:5], 0
	s_mov_b32 s7, 0x3fd55555
	v_mul_f64 v[43:44], v[45:46], 0.5
	v_fma_f64 v[49:50], v[45:46], 0.5, 0
	v_fma_f64 v[47:48], v[43:44], 0.5, v[8:9]
	;; [unrolled: 1-line block ×3, first 2 shown]
	v_fma_f64 v[51:52], v[43:44], v[47:48], 0
	v_fma_f64 v[45:46], v[45:46], 0.5, v[49:50]
	v_fma_f64 v[51:52], v[43:44], v[47:48], v[51:52]
	v_fma_f64 v[47:48], v[43:44], v[47:48], v[51:52]
	s_branch .LBB2_288
.LBB2_286:                              ;   in Loop: Header=BB2_288 Depth=1
	s_or_b32 exec_lo, exec_lo, s11
	v_mov_b32_e32 v65, v24
	v_mov_b32_e32 v24, v29
.LBB2_287:                              ;   in Loop: Header=BB2_288 Depth=1
	s_or_b32 exec_lo, exec_lo, s10
	v_lshl_add_u32 v24, v24, 3, 0xd0
	v_lshl_add_u32 v26, v65, 3, 0xd0
	s_waitcnt vmcnt(12)
	v_add_f64 v[49:50], v[49:50], v[55:56]
	s_waitcnt vmcnt(4)
	v_add_f64 v[55:56], v[57:58], v[63:64]
	s_add_u32 s4, s4, 1
	s_clause 0x7
	buffer_load_dword v67, v24, s[0:3], 0 offen offset:68
	buffer_load_dword v66, v24, s[0:3], 0 offen offset:64
	;; [unrolled: 1-line block ×5, first 2 shown]
	buffer_load_dword v70, v24, s[0:3], 0 offen
	buffer_load_dword v89, v26, s[0:3], 0 offen
	buffer_load_dword v90, v26, s[0:3], 0 offen offset:4
	s_addc_u32 s5, s5, 0
	v_cmp_eq_u64_e32 vcc_lo, s[4:5], v[41:42]
	s_or_b32 s9, vcc_lo, s9
	v_add_f64 v[49:50], v[49:50], v[53:54]
	s_waitcnt vmcnt(10)
	v_add_f64 v[53:54], v[55:56], v[61:62]
	v_add_f64 v[49:50], v[49:50], v[51:52]
	s_waitcnt vmcnt(8)
	v_add_f64 v[51:52], v[53:54], v[59:60]
	v_fma_f64 v[49:50], 0x3fd00000, v[49:50], -v[0:1]
	v_fma_f64 v[51:52], 0x3fd00000, v[51:52], -v[4:5]
	v_mul_f64 v[49:50], v[32:33], v[49:50]
	s_waitcnt vmcnt(3)
	v_add_f64 v[55:56], v[87:88], -v[4:5]
	s_waitcnt vmcnt(2)
	v_add_f64 v[57:58], v[70:71], -v[0:1]
	v_add_f64 v[53:54], v[66:67], -v[4:5]
	s_waitcnt vmcnt(0)
	v_add_f64 v[59:60], v[89:90], -v[0:1]
	v_mul_f64 v[61:62], v[6:7], v[55:56]
	v_fma_f64 v[63:64], -v[32:33], v[57:58], v[49:50]
	v_mul_f64 v[53:54], v[6:7], v[53:54]
	v_mul_f64 v[67:68], v[32:33], v[59:60]
	v_fma_f64 v[70:71], v[32:33], v[59:60], v[49:50]
	v_fma_f64 v[59:60], v[32:33], v[59:60], -v[49:50]
	v_fma_f64 v[89:90], v[32:33], v[57:58], v[49:50]
	v_fma_f64 v[87:88], v[6:7], v[51:52], v[61:62]
	;; [unrolled: 1-line block ×5, first 2 shown]
	v_fma_f64 v[91:92], v[32:33], v[57:58], -v[67:68]
	v_mul_f64 v[63:64], v[63:64], v[65:66]
	v_fma_f64 v[65:66], v[38:39], v[65:66], v[4:5]
	v_fma_f64 v[70:71], v[43:44], v[70:71], 0
	;; [unrolled: 1-line block ×6, first 2 shown]
	v_mul_f64 v[57:58], v[32:33], v[57:58]
	v_fma_f64 v[59:60], v[91:92], v[55:56], v[59:60]
	v_fma_f64 v[63:64], v[43:44], v[63:64], 0
	;; [unrolled: 1-line block ×5, first 2 shown]
	ds_write2_b64 v69, v[67:68], v[57:58] offset1:2
	ds_write2_b64 v69, v[61:62], v[53:54] offset0:10 offset1:12
	ds_write2_b64 v69, v[34:35], v[34:35] offset0:20 offset1:22
	v_mul_f64 v[59:60], v[59:60], 0.5
	v_fma_f64 v[63:64], v[43:44], v[65:66], v[63:64]
	v_fma_f64 v[65:66], v[43:44], v[89:90], v[70:71]
	v_mul_f64 v[59:60], v[59:60], s[6:7]
	v_fma_f64 v[55:56], v[43:44], v[55:56], v[63:64]
	v_fma_f64 v[63:64], v[45:46], v[59:60], 0
	;; [unrolled: 1-line block ×9, first 2 shown]
	s_andn2_b32 exec_lo, exec_lo, s9
	s_cbranch_execz .LBB2_313
.LBB2_288:                              ; =>This Inner Loop Header: Depth=1
	s_cmp_eq_u32 s4, 1
	s_mov_b32 s10, exec_lo
	s_cselect_b32 vcc_lo, -1, 0
	s_cmp_eq_u32 s4, 2
	v_cndmask_b32_e32 v24, v19, v76, vcc_lo
	s_cselect_b32 vcc_lo, -1, 0
	s_cmp_eq_u32 s4, 3
                                        ; implicit-def: $vgpr66
                                        ; implicit-def: $vgpr52
                                        ; implicit-def: $vgpr26
                                        ; implicit-def: $vgpr51
                                        ; implicit-def: $vgpr29
                                        ; implicit-def: $vgpr53
                                        ; implicit-def: $vgpr50
	v_cndmask_b32_e32 v24, v24, v80, vcc_lo
	s_cselect_b32 vcc_lo, -1, 0
	s_cmp_eq_u32 s4, 4
	v_cndmask_b32_e32 v24, v24, v25, vcc_lo
	s_cselect_b32 vcc_lo, -1, 0
	s_cmp_eq_u32 s4, 5
	;; [unrolled: 3-line block ×20, first 2 shown]
	v_cndmask_b32_e32 v24, v24, v74, vcc_lo
	s_cselect_b32 vcc_lo, -1, 0
	v_cndmask_b32_e32 v65, v24, v84, vcc_lo
	v_bfe_u32 v24, v65, 2, 6
	v_cmpx_lt_i32_e32 1, v24
	s_xor_b32 s10, exec_lo, s10
	s_cbranch_execz .LBB2_300
; %bb.289:                              ;   in Loop: Header=BB2_288 Depth=1
	s_mov_b32 s11, exec_lo
                                        ; implicit-def: $vgpr66
                                        ; implicit-def: $vgpr52
                                        ; implicit-def: $vgpr26
                                        ; implicit-def: $vgpr51
                                        ; implicit-def: $vgpr29
                                        ; implicit-def: $vgpr53
                                        ; implicit-def: $vgpr50
	v_cmpx_lt_i32_e32 2, v24
	s_xor_b32 s11, exec_lo, s11
	s_cbranch_execz .LBB2_297
; %bb.290:                              ;   in Loop: Header=BB2_288 Depth=1
	s_mov_b32 s12, exec_lo
                                        ; implicit-def: $vgpr66
                                        ; implicit-def: $vgpr52
                                        ; implicit-def: $vgpr26
                                        ; implicit-def: $vgpr51
                                        ; implicit-def: $vgpr29
                                        ; implicit-def: $vgpr53
                                        ; implicit-def: $vgpr50
	v_cmpx_lt_i32_e32 3, v24
	s_xor_b32 s12, exec_lo, s12
	s_cbranch_execz .LBB2_294
; %bb.291:                              ;   in Loop: Header=BB2_288 Depth=1
	s_mov_b32 s13, exec_lo
	v_cmpx_ne_u32_e32 4, v24
	s_xor_b32 s13, exec_lo, s13
	s_or_saveexec_b32 s13, s13
	v_mov_b32_e32 v24, 4
	v_mov_b32_e32 v29, 6
	;; [unrolled: 1-line block ×8, first 2 shown]
	s_xor_b32 exec_lo, exec_lo, s13
	s_cbranch_execz .LBB2_293
; %bb.292:                              ;   in Loop: Header=BB2_288 Depth=1
	v_mov_b32_e32 v24, 0
	v_mov_b32_e32 v29, 1
	;; [unrolled: 1-line block ×8, first 2 shown]
.LBB2_293:                              ;   in Loop: Header=BB2_288 Depth=1
	s_or_b32 exec_lo, exec_lo, s13
.LBB2_294:                              ;   in Loop: Header=BB2_288 Depth=1
	s_andn2_saveexec_b32 s12, s12
	s_cbranch_execz .LBB2_296
; %bb.295:                              ;   in Loop: Header=BB2_288 Depth=1
	v_mov_b32_e32 v24, 2
	v_mov_b32_e32 v29, 3
	;; [unrolled: 1-line block ×8, first 2 shown]
.LBB2_296:                              ;   in Loop: Header=BB2_288 Depth=1
	s_or_b32 exec_lo, exec_lo, s12
.LBB2_297:                              ;   in Loop: Header=BB2_288 Depth=1
	s_andn2_saveexec_b32 s11, s11
	s_cbranch_execz .LBB2_299
; %bb.298:                              ;   in Loop: Header=BB2_288 Depth=1
	v_mov_b32_e32 v24, 0
	v_mov_b32_e32 v29, 4
	;; [unrolled: 1-line block ×8, first 2 shown]
.LBB2_299:                              ;   in Loop: Header=BB2_288 Depth=1
	s_or_b32 exec_lo, exec_lo, s11
.LBB2_300:                              ;   in Loop: Header=BB2_288 Depth=1
	s_andn2_saveexec_b32 s10, s10
	s_cbranch_execz .LBB2_304
; %bb.301:                              ;   in Loop: Header=BB2_288 Depth=1
	v_mov_b32_e32 v29, 2
	v_mov_b32_e32 v26, 6
	;; [unrolled: 1-line block ×7, first 2 shown]
	s_mov_b32 s11, exec_lo
	v_cmpx_lt_i32_e32 0, v24
	s_cbranch_execz .LBB2_303
; %bb.302:                              ;   in Loop: Header=BB2_288 Depth=1
	v_mov_b32_e32 v24, 1
	v_mov_b32_e32 v29, 5
	;; [unrolled: 1-line block ×8, first 2 shown]
.LBB2_303:                              ;   in Loop: Header=BB2_288 Depth=1
	s_or_b32 exec_lo, exec_lo, s11
.LBB2_304:                              ;   in Loop: Header=BB2_288 Depth=1
	s_or_b32 exec_lo, exec_lo, s10
	v_lshl_add_u32 v58, v24, 3, 0xd0
	v_lshl_add_u32 v59, v29, 3, 0xd0
	;; [unrolled: 1-line block ×3, first 2 shown]
	s_clause 0x7
	buffer_load_dword v49, v50, s[0:3], 0 offen
	buffer_load_dword v50, v50, s[0:3], 0 offen offset:4
	buffer_load_dword v55, v53, s[0:3], 0 offen
	buffer_load_dword v56, v53, s[0:3], 0 offen offset:4
	;; [unrolled: 2-line block ×4, first 2 shown]
	v_lshl_add_u32 v67, v66, 3, 0xd0
	s_clause 0x7
	buffer_load_dword v57, v58, s[0:3], 0 offen offset:64
	buffer_load_dword v58, v58, s[0:3], 0 offen offset:68
	;; [unrolled: 1-line block ×8, first 2 shown]
	v_and_b32_sdwa v67, v65, v18 dst_sel:DWORD dst_unused:UNUSED_PAD src0_sel:BYTE_0 src1_sel:DWORD
	s_mov_b32 s10, exec_lo
                                        ; implicit-def: $vgpr65
	v_cmpx_lt_i32_e32 1, v67
	s_xor_b32 s10, exec_lo, s10
	s_cbranch_execz .LBB2_310
; %bb.305:                              ;   in Loop: Header=BB2_288 Depth=1
	s_mov_b32 s11, exec_lo
	v_cmpx_lt_i32_e32 2, v67
	s_xor_b32 s11, exec_lo, s11
; %bb.306:                              ;   in Loop: Header=BB2_288 Depth=1
                                        ; implicit-def: $vgpr26
; %bb.307:                              ;   in Loop: Header=BB2_288 Depth=1
	s_or_saveexec_b32 s11, s11
	v_mov_b32_e32 v65, v66
	s_xor_b32 exec_lo, exec_lo, s11
; %bb.308:                              ;   in Loop: Header=BB2_288 Depth=1
	v_mov_b32_e32 v65, v26
	v_mov_b32_e32 v24, v66
; %bb.309:                              ;   in Loop: Header=BB2_288 Depth=1
	s_or_b32 exec_lo, exec_lo, s11
                                        ; implicit-def: $vgpr29
                                        ; implicit-def: $vgpr26
                                        ; implicit-def: $vgpr67
.LBB2_310:                              ;   in Loop: Header=BB2_288 Depth=1
	s_andn2_saveexec_b32 s10, s10
	s_cbranch_execz .LBB2_287
; %bb.311:                              ;   in Loop: Header=BB2_288 Depth=1
	s_mov_b32 s11, exec_lo
	v_cmpx_eq_u32_e32 1, v67
	s_cbranch_execz .LBB2_286
; %bb.312:                              ;   in Loop: Header=BB2_288 Depth=1
	v_mov_b32_e32 v24, v29
	v_mov_b32_e32 v29, v26
	s_branch .LBB2_286
.LBB2_313:
	s_or_b32 exec_lo, exec_lo, s9
	v_mul_f64 v[41:42], v[6:7], v[51:52]
	ds_write2_b64 v69, v[49:50], v[41:42] offset0:1 offset1:11
	ds_write_b64 v69, v[34:35] offset:168
.LBB2_314:
	s_or_b32 exec_lo, exec_lo, s8
	buffer_load_dword v93, off, s[0:3], 0
	s_mov_b32 s9, 0
	s_mov_b32 s8, exec_lo
	s_waitcnt vmcnt(0)
	v_and_b32_e32 v92, 1, v93
	v_bfe_u32 v18, v93, 1, 1
	v_bfe_u32 v24, v93, 2, 1
	v_add_nc_u32_e32 v91, v18, v92
	v_bfe_u32 v18, v93, 3, 1
	v_add_nc_u32_e32 v90, v91, v24
	;; [unrolled: 2-line block ×22, first 2 shown]
	v_add_nc_u32_e32 v18, v24, v18
	v_cmpx_ne_u32_e32 0, v18
	s_cbranch_execz .LBB2_344
; %bb.315:
	v_perm_b32 v25, v80, v25, 0xc0c0004
	v_perm_b32 v19, v19, v76, 0xc0c0004
	v_lshlrev_b16 v76, 8, v76
	v_cmp_eq_u32_e32 vcc_lo, 0, v92
	v_lshlrev_b16 v85, 8, v85
	v_lshlrev_b32_e32 v25, 16, v25
	v_lshlrev_b16 v80, 8, v81
	v_perm_b32 v81, v75, v82, 0xc0c0004
	v_perm_b32 v40, v73, v40, 0xc0c0004
	v_or_b32_sdwa v85, v27, v85 dst_sel:DWORD dst_unused:UNUSED_PAD src0_sel:BYTE_0 src1_sel:DWORD
	v_or_b32_e32 v19, v19, v25
	v_or_b32_sdwa v25, v76, v25 dst_sel:DWORD dst_unused:UNUSED_PAD src0_sel:WORD_0 src1_sel:DWORD
	v_perm_b32 v86, v28, v86, 0xc0c0004
	v_cmp_ne_u32_e64 s4, 19, v92
	v_and_b32_e32 v97, 0xffff, v85
	v_perm_b32 v22, v22, v83, 0xc0c0004
	v_cndmask_b32_e32 v19, v25, v19, vcc_lo
	v_lshrrev_b32_e32 v98, 8, v86
	v_and_b32_e32 v73, 0xff, v73
	v_lshl_or_b32 v25, v40, 16, v97
	v_lshrrev_b32_e32 v40, 8, v40
	v_lshrrev_b32_e32 v82, 8, v19
	v_lshrrev_b32_e32 v99, 24, v19
	v_cndmask_b32_e64 v100, v19, 1, vcc_lo
	v_lshrrev_b32_e32 v101, 16, v19
	v_cndmask_b32_e64 v40, 1, v40, s4
	v_cndmask_b32_e32 v82, 1, v82, vcc_lo
	v_cmp_ne_u32_e32 vcc_lo, 3, v92
	v_cmp_ne_u32_e64 s4, 18, v92
	v_perm_b32 v84, v74, v84, 0xc0c0004
	v_lshrrev_b32_e32 v83, 8, v22
	v_lshlrev_b16 v82, 8, v82
	v_cndmask_b32_e32 v99, 1, v99, vcc_lo
	v_cmp_ne_u32_e32 vcc_lo, 2, v92
	v_cndmask_b32_e64 v73, 1, v73, s4
	v_cmp_ne_u32_e64 s4, 13, v92
	v_or_b32_sdwa v82, v100, v82 dst_sel:DWORD dst_unused:UNUSED_PAD src0_sel:BYTE_0 src1_sel:DWORD
	v_and_b32_e32 v94, 2, v93
	v_cndmask_b32_e32 v100, 1, v101, vcc_lo
	v_cmp_ne_u32_e32 vcc_lo, 21, v92
	v_and_b32_e32 v95, 4, v93
	v_and_b32_e32 v96, 8, v93
	;; [unrolled: 1-line block ×4, first 2 shown]
	v_cndmask_b32_e32 v98, 1, v98, vcc_lo
	v_cmp_ne_u32_e32 vcc_lo, 20, v92
	v_and_b32_e32 v70, 64, v93
	v_and_b32_e32 v67, 0x80, v93
	;; [unrolled: 1-line block ×18, first 2 shown]
	v_lshl_or_b32 v93, v84, 16, v86
	v_or_b32_sdwa v21, v21, v80 dst_sel:DWORD dst_unused:UNUSED_PAD src0_sel:BYTE_0 src1_sel:DWORD
	v_lshrrev_b32_e32 v84, 8, v84
	v_cndmask_b32_e32 v86, 1, v86, vcc_lo
	v_cmp_ne_u32_e32 vcc_lo, 23, v92
	v_cndmask_b32_e64 v83, 1, v83, s4
	v_cmp_ne_u32_e64 s4, 12, v92
	v_perm_b32 v23, v72, v23, 0xc0c0004
	v_perm_b32 v78, v79, v78, 0xc0c0004
	v_and_b32_e32 v76, 0xffff, v21
	v_lshl_or_b32 v79, v81, 16, v22
	v_and_b32_e32 v75, 0xff, v75
	v_and_b32_e32 v74, 0xff, v74
	v_cndmask_b32_e32 v84, 1, v84, vcc_lo
	v_cmp_ne_u32_e32 vcc_lo, 22, v92
	v_cndmask_b32_e64 v22, 1, v22, s4
	v_cmp_ne_u32_e64 s4, 14, v92
	v_lshl_or_b32 v80, v23, 16, v76
	v_lshrrev_b32_e32 v97, 8, v97
	v_cndmask_b32_e32 v74, 1, v74, vcc_lo
	v_cmp_ne_u32_e32 vcc_lo, 17, v92
	v_lshrrev_b32_e32 v76, 8, v76
	v_cndmask_b32_e64 v75, 1, v75, s4
	v_cmp_ne_u32_e64 s4, 9, v92
	v_perm_b32 v20, v20, v77, 0xc0c0004
	v_lshlrev_b32_e32 v77, 16, v78
	v_lshrrev_b32_e32 v81, 8, v81
	v_lshlrev_b16 v84, 8, v84
	v_cndmask_b32_e32 v97, 1, v97, vcc_lo
	v_cmp_ne_u32_e32 vcc_lo, 16, v92
	v_cndmask_b32_e64 v76, 1, v76, s4
	v_cmp_ne_u32_e64 s4, 15, v92
	v_or_b32_e32 v77, v20, v77
	v_or_b32_sdwa v74, v74, v84 dst_sel:WORD_1 dst_unused:UNUSED_PAD src0_sel:DWORD src1_sel:DWORD
	v_cndmask_b32_e32 v84, 1, v85, vcc_lo
	v_lshlrev_b16 v85, 8, v97
	v_cndmask_b32_e64 v81, 1, v81, s4
	v_cmp_ne_u32_e64 s4, 8, v92
	v_and_b32_e32 v72, 0xff, v72
	v_lshlrev_b16 v98, 8, v98
	v_or_b32_sdwa v84, v84, v85 dst_sel:DWORD dst_unused:UNUSED_PAD src0_sel:BYTE_0 src1_sel:DWORD
	v_lshrrev_b32_e32 v85, 8, v77
	v_cndmask_b32_e64 v21, 1, v21, s4
	v_cmp_ne_u32_e64 s4, 5, v92
	v_lshlrev_b16 v99, 8, v99
	v_or_b32_sdwa v86, v86, v98 dst_sel:DWORD dst_unused:UNUSED_PAD src0_sel:BYTE_0 src1_sel:DWORD
	v_lshrrev_b32_e32 v23, 8, v23
	v_cmp_eq_u32_e32 vcc_lo, 0, v94
	v_cndmask_b32_e64 v85, 1, v85, s4
	v_cmp_ne_u32_e64 s4, 10, v92
	v_or_b32_sdwa v99, v100, v99 dst_sel:WORD_1 dst_unused:UNUSED_PAD src0_sel:BYTE_0 src1_sel:DWORD
	v_or_b32_sdwa v74, v86, v74 dst_sel:DWORD dst_unused:UNUSED_PAD src0_sel:WORD_0 src1_sel:DWORD
	v_bfe_u32 v86, v78, 8, 8
	v_lshlrev_b16 v40, 8, v40
	v_cndmask_b32_e64 v72, 1, v72, s4
	v_cmp_ne_u32_e64 s4, 11, v92
	v_or_b32_sdwa v82, v82, v99 dst_sel:DWORD dst_unused:UNUSED_PAD src0_sel:WORD_0 src1_sel:DWORD
	v_lshlrev_b16 v76, 8, v76
	v_lshlrev_b16 v83, 8, v83
	;; [unrolled: 1-line block ×3, first 2 shown]
	v_cndmask_b32_e64 v23, 1, v23, s4
	v_cmp_ne_u32_e64 s4, 7, v92
	v_or_b32_sdwa v21, v21, v76 dst_sel:DWORD dst_unused:UNUSED_PAD src0_sel:BYTE_0 src1_sel:DWORD
	v_or_b32_sdwa v40, v73, v40 dst_sel:WORD_1 dst_unused:UNUSED_PAD src0_sel:DWORD src1_sel:DWORD
	v_cndmask_b32_e32 v19, v82, v19, vcc_lo
	v_lshlrev_b16 v23, 8, v23
	v_cndmask_b32_e64 v86, 1, v86, s4
	v_cmp_ne_u32_e64 s4, 4, v92
	v_lshlrev_b16 v85, 8, v85
	v_or_b32_sdwa v22, v22, v83 dst_sel:DWORD dst_unused:UNUSED_PAD src0_sel:BYTE_0 src1_sel:DWORD
	v_or_b32_sdwa v23, v72, v23 dst_sel:WORD_1 dst_unused:UNUSED_PAD src0_sel:DWORD src1_sel:DWORD
	v_lshlrev_b16 v86, 8, v86
	v_cndmask_b32_e64 v20, 1, v20, s4
	v_cmp_ne_u32_e64 s4, 6, v92
	v_or_b32_sdwa v72, v75, v81 dst_sel:WORD_1 dst_unused:UNUSED_PAD src0_sel:DWORD src1_sel:DWORD
	v_or_b32_sdwa v21, v21, v23 dst_sel:DWORD dst_unused:UNUSED_PAD src0_sel:WORD_0 src1_sel:DWORD
	v_or_b32_sdwa v23, v84, v40 dst_sel:DWORD dst_unused:UNUSED_PAD src0_sel:WORD_0 src1_sel:DWORD
	v_lshrrev_b32_e32 v40, 8, v19
	v_cndmask_b32_e64 v78, 1, v78, s4
	v_cmp_ne_u32_e64 s4, 1, v91
	v_or_b32_sdwa v20, v20, v85 dst_sel:DWORD dst_unused:UNUSED_PAD src0_sel:BYTE_0 src1_sel:DWORD
	v_or_b32_sdwa v22, v22, v72 dst_sel:DWORD dst_unused:UNUSED_PAD src0_sel:WORD_0 src1_sel:DWORD
	v_lshrrev_b32_e32 v72, 24, v19
	v_or_b32_sdwa v76, v78, v86 dst_sel:WORD_1 dst_unused:UNUSED_PAD src0_sel:BYTE_0 src1_sel:DWORD
	v_cndmask_b32_e64 v40, 2, v40, s4
	v_cmp_ne_u32_e64 s4, 3, v91
	v_cndmask_b32_e32 v73, v74, v93, vcc_lo
	v_cndmask_b32_e32 v21, v21, v80, vcc_lo
	v_or_b32_sdwa v20, v20, v76 dst_sel:DWORD dst_unused:UNUSED_PAD src0_sel:WORD_0 src1_sel:DWORD
	v_cndmask_b32_e32 v22, v22, v79, vcc_lo
	v_cndmask_b32_e64 v72, 2, v72, s4
	v_cmp_ne_u32_e64 s4, 0, v91
	v_lshrrev_b32_e32 v74, 16, v19
	v_cndmask_b32_e32 v20, v20, v77, vcc_lo
	v_lshlrev_b16 v40, 8, v40
	v_cndmask_b32_e32 v23, v23, v25, vcc_lo
	v_cndmask_b32_e64 v75, 2, v19, s4
	v_cmp_ne_u32_e64 s4, 2, v91
	v_lshrrev_b32_e32 v25, 8, v73
	v_cmp_ne_u32_e32 vcc_lo, 21, v91
	v_lshlrev_b16 v72, 8, v72
	v_or_b32_sdwa v40, v75, v40 dst_sel:DWORD dst_unused:UNUSED_PAD src0_sel:BYTE_0 src1_sel:DWORD
	v_cndmask_b32_e64 v74, 2, v74, s4
	v_lshrrev_b32_e32 v75, 24, v73
	v_cndmask_b32_e32 v25, 2, v25, vcc_lo
	v_cmp_ne_u32_e32 vcc_lo, 23, v91
	v_lshrrev_b32_e32 v76, 16, v73
	v_or_b32_sdwa v72, v74, v72 dst_sel:WORD_1 dst_unused:UNUSED_PAD src0_sel:BYTE_0 src1_sel:DWORD
	v_lshrrev_b32_e32 v77, 8, v23
	v_lshlrev_b16 v25, 8, v25
	v_cndmask_b32_e32 v74, 2, v75, vcc_lo
	v_cmp_ne_u32_e32 vcc_lo, 20, v91
	v_or_b32_sdwa v40, v40, v72 dst_sel:DWORD dst_unused:UNUSED_PAD src0_sel:WORD_0 src1_sel:DWORD
	v_cmp_ne_u32_e64 s4, 18, v91
	v_lshrrev_b32_e32 v79, 8, v21
	v_lshlrev_b16 v74, 8, v74
	v_cndmask_b32_e32 v75, 2, v73, vcc_lo
	v_cmp_ne_u32_e32 vcc_lo, 22, v91
	v_lshrrev_b32_e32 v80, 24, v21
	v_lshrrev_b32_e32 v83, 16, v21
	;; [unrolled: 1-line block ×3, first 2 shown]
	v_or_b32_sdwa v25, v75, v25 dst_sel:DWORD dst_unused:UNUSED_PAD src0_sel:BYTE_0 src1_sel:DWORD
	v_cndmask_b32_e32 v76, 2, v76, vcc_lo
	v_cmp_ne_u32_e32 vcc_lo, 17, v91
	v_lshrrev_b32_e32 v85, 24, v20
	v_lshrrev_b32_e32 v75, 24, v23
	v_lshrrev_b32_e32 v86, 16, v20
	v_or_b32_sdwa v74, v76, v74 dst_sel:WORD_1 dst_unused:UNUSED_PAD src0_sel:BYTE_0 src1_sel:DWORD
	v_cndmask_b32_e32 v72, 2, v77, vcc_lo
	v_cmp_ne_u32_e32 vcc_lo, 16, v91
	v_lshrrev_b32_e32 v77, 24, v22
	v_lshrrev_b32_e32 v81, 16, v22
	v_or_b32_sdwa v25, v25, v74 dst_sel:DWORD dst_unused:UNUSED_PAD src0_sel:WORD_0 src1_sel:DWORD
	v_lshlrev_b16 v72, 8, v72
	v_cndmask_b32_e32 v76, 2, v23, vcc_lo
	v_lshrrev_b32_e32 v74, 16, v23
	v_cmp_ne_u32_e32 vcc_lo, 19, v91
	s_mov_b32 s6, 0x55555555
	s_mov_b32 s7, 0x3fd55555
	v_or_b32_sdwa v72, v76, v72 dst_sel:DWORD dst_unused:UNUSED_PAD src0_sel:BYTE_0 src1_sel:DWORD
	v_lshrrev_b32_e32 v76, 8, v22
	v_cndmask_b32_e64 v74, 2, v74, s4
	v_cmp_ne_u32_e64 s4, 13, v91
	v_cndmask_b32_e32 v75, 2, v75, vcc_lo
	v_cmp_eq_u32_e32 vcc_lo, 0, v95
	v_cndmask_b32_e64 v76, 2, v76, s4
	v_cmp_ne_u32_e64 s4, 15, v91
	v_lshlrev_b16 v75, 8, v75
	v_cndmask_b32_e32 v19, v40, v19, vcc_lo
	v_cndmask_b32_e32 v25, v25, v73, vcc_lo
	v_lshlrev_b16 v76, 8, v76
	v_cndmask_b32_e64 v77, 2, v77, s4
	v_cmp_ne_u32_e64 s4, 12, v91
	v_or_b32_sdwa v74, v74, v75 dst_sel:WORD_1 dst_unused:UNUSED_PAD src0_sel:BYTE_0 src1_sel:DWORD
	v_lshlrev_b16 v77, 8, v77
	v_cndmask_b32_e64 v78, 2, v22, s4
	v_cmp_ne_u32_e64 s4, 9, v91
	v_or_b32_sdwa v72, v72, v74 dst_sel:DWORD dst_unused:UNUSED_PAD src0_sel:WORD_0 src1_sel:DWORD
	v_lshrrev_b32_e32 v74, 8, v19
	v_or_b32_sdwa v76, v78, v76 dst_sel:DWORD dst_unused:UNUSED_PAD src0_sel:BYTE_0 src1_sel:DWORD
	v_cndmask_b32_e64 v79, 2, v79, s4
	v_cmp_ne_u32_e64 s4, 11, v91
	v_cndmask_b32_e32 v23, v72, v23, vcc_lo
	v_lshrrev_b32_e32 v72, 8, v25
	v_lshlrev_b16 v79, 8, v79
	v_cndmask_b32_e64 v80, 2, v80, s4
	v_cmp_ne_u32_e64 s4, 8, v91
	v_lshlrev_b16 v80, 8, v80
	v_cndmask_b32_e64 v82, 2, v21, s4
	v_cmp_ne_u32_e64 s4, 10, v91
	v_or_b32_sdwa v79, v82, v79 dst_sel:DWORD dst_unused:UNUSED_PAD src0_sel:BYTE_0 src1_sel:DWORD
	v_cndmask_b32_e64 v83, 2, v83, s4
	v_cmp_ne_u32_e64 s4, 5, v91
	v_or_b32_sdwa v80, v83, v80 dst_sel:WORD_1 dst_unused:UNUSED_PAD src0_sel:BYTE_0 src1_sel:DWORD
	v_cndmask_b32_e64 v84, 2, v84, s4
	v_cmp_ne_u32_e64 s4, 7, v91
	v_or_b32_sdwa v78, v79, v80 dst_sel:DWORD dst_unused:UNUSED_PAD src0_sel:WORD_0 src1_sel:DWORD
	v_lshlrev_b16 v84, 8, v84
	v_cndmask_b32_e64 v85, 2, v85, s4
	v_cmp_ne_u32_e64 s4, 4, v91
	v_cndmask_b32_e32 v21, v78, v21, vcc_lo
	v_lshlrev_b16 v85, 8, v85
	v_cndmask_b32_e64 v92, 2, v20, s4
	v_cmp_ne_u32_e64 s4, 6, v91
	v_lshrrev_b32_e32 v79, 8, v21
	v_lshrrev_b32_e32 v80, 24, v21
	;; [unrolled: 1-line block ×3, first 2 shown]
	v_or_b32_sdwa v82, v92, v84 dst_sel:DWORD dst_unused:UNUSED_PAD src0_sel:BYTE_0 src1_sel:DWORD
	v_cndmask_b32_e64 v86, 2, v86, s4
	v_cmp_ne_u32_e64 s4, 14, v91
	v_or_b32_sdwa v84, v86, v85 dst_sel:WORD_1 dst_unused:UNUSED_PAD src0_sel:BYTE_0 src1_sel:DWORD
	v_cndmask_b32_e64 v81, 2, v81, s4
	v_cmp_ne_u32_e64 s4, 1, v90
	v_or_b32_sdwa v75, v82, v84 dst_sel:DWORD dst_unused:UNUSED_PAD src0_sel:WORD_0 src1_sel:DWORD
	v_or_b32_sdwa v77, v81, v77 dst_sel:WORD_1 dst_unused:UNUSED_PAD src0_sel:BYTE_0 src1_sel:DWORD
	v_cndmask_b32_e64 v73, 3, v74, s4
	v_cmp_ne_u32_e64 s4, 3, v90
	v_lshrrev_b32_e32 v74, 16, v19
	v_cndmask_b32_e32 v20, v75, v20, vcc_lo
	v_or_b32_sdwa v40, v76, v77 dst_sel:DWORD dst_unused:UNUSED_PAD src0_sel:WORD_0 src1_sel:DWORD
	v_lshlrev_b16 v73, 8, v73
	v_lshrrev_b32_e32 v76, 16, v25
	v_lshrrev_b32_e32 v77, 8, v23
	;; [unrolled: 1-line block ×3, first 2 shown]
	v_cndmask_b32_e32 v22, v40, v22, vcc_lo
	v_lshrrev_b32_e32 v40, 24, v19
	v_cmp_ne_u32_e32 vcc_lo, 21, v90
	v_lshrrev_b32_e32 v85, 24, v20
	v_lshrrev_b32_e32 v86, 16, v20
	;; [unrolled: 1-line block ×3, first 2 shown]
	v_cndmask_b32_e64 v40, 3, v40, s4
	v_cmp_ne_u32_e64 s4, 0, v90
	v_cndmask_b32_e32 v72, 3, v72, vcc_lo
	v_cmp_ne_u32_e32 vcc_lo, 23, v90
	v_lshlrev_b16 v40, 8, v40
	v_cndmask_b32_e64 v75, 3, v19, s4
	v_cmp_ne_u32_e64 s4, 2, v90
	v_lshlrev_b16 v72, 8, v72
	v_or_b32_sdwa v73, v75, v73 dst_sel:DWORD dst_unused:UNUSED_PAD src0_sel:BYTE_0 src1_sel:DWORD
	v_cndmask_b32_e64 v74, 3, v74, s4
	v_lshrrev_b32_e32 v75, 24, v25
	v_cmp_ne_u32_e64 s4, 18, v90
	v_or_b32_sdwa v40, v74, v40 dst_sel:WORD_1 dst_unused:UNUSED_PAD src0_sel:BYTE_0 src1_sel:DWORD
	v_cndmask_b32_e32 v74, 3, v75, vcc_lo
	v_cmp_ne_u32_e32 vcc_lo, 20, v90
	v_or_b32_sdwa v40, v73, v40 dst_sel:DWORD dst_unused:UNUSED_PAD src0_sel:WORD_0 src1_sel:DWORD
	v_lshlrev_b16 v74, 8, v74
	v_cndmask_b32_e32 v75, 3, v25, vcc_lo
	v_cmp_ne_u32_e32 vcc_lo, 22, v90
	v_or_b32_sdwa v72, v75, v72 dst_sel:DWORD dst_unused:UNUSED_PAD src0_sel:BYTE_0 src1_sel:DWORD
	v_cndmask_b32_e32 v76, 3, v76, vcc_lo
	v_cmp_ne_u32_e32 vcc_lo, 17, v90
	v_lshrrev_b32_e32 v75, 24, v23
	v_or_b32_sdwa v74, v76, v74 dst_sel:WORD_1 dst_unused:UNUSED_PAD src0_sel:BYTE_0 src1_sel:DWORD
	v_cndmask_b32_e32 v73, 3, v77, vcc_lo
	v_cmp_ne_u32_e32 vcc_lo, 16, v90
	v_lshrrev_b32_e32 v77, 24, v22
	v_or_b32_sdwa v72, v72, v74 dst_sel:DWORD dst_unused:UNUSED_PAD src0_sel:WORD_0 src1_sel:DWORD
	v_lshlrev_b16 v73, 8, v73
	v_cndmask_b32_e32 v76, 3, v23, vcc_lo
	v_lshrrev_b32_e32 v74, 16, v23
	v_cmp_ne_u32_e32 vcc_lo, 19, v90
	v_or_b32_sdwa v73, v76, v73 dst_sel:DWORD dst_unused:UNUSED_PAD src0_sel:BYTE_0 src1_sel:DWORD
	v_lshrrev_b32_e32 v76, 8, v22
	v_cndmask_b32_e64 v74, 3, v74, s4
	v_cmp_ne_u32_e64 s4, 13, v90
	v_cndmask_b32_e32 v75, 3, v75, vcc_lo
	v_cmp_eq_u32_e32 vcc_lo, 0, v96
	v_cndmask_b32_e64 v76, 3, v76, s4
	v_cmp_ne_u32_e64 s4, 15, v90
	v_lshlrev_b16 v75, 8, v75
	v_cndmask_b32_e32 v19, v40, v19, vcc_lo
	v_cndmask_b32_e32 v25, v72, v25, vcc_lo
	v_lshlrev_b16 v76, 8, v76
	v_cndmask_b32_e64 v77, 3, v77, s4
	v_cmp_ne_u32_e64 s4, 12, v90
	v_or_b32_sdwa v74, v74, v75 dst_sel:WORD_1 dst_unused:UNUSED_PAD src0_sel:BYTE_0 src1_sel:DWORD
	v_lshlrev_b16 v77, 8, v77
	v_cndmask_b32_e64 v78, 3, v22, s4
	v_cmp_ne_u32_e64 s4, 9, v90
	v_or_b32_sdwa v73, v73, v74 dst_sel:DWORD dst_unused:UNUSED_PAD src0_sel:WORD_0 src1_sel:DWORD
	v_lshrrev_b32_e32 v74, 8, v19
	v_or_b32_sdwa v76, v78, v76 dst_sel:DWORD dst_unused:UNUSED_PAD src0_sel:BYTE_0 src1_sel:DWORD
	v_cndmask_b32_e64 v79, 3, v79, s4
	v_cmp_ne_u32_e64 s4, 11, v90
	v_cndmask_b32_e32 v23, v73, v23, vcc_lo
	v_lshrrev_b32_e32 v73, 8, v25
	v_lshlrev_b16 v79, 8, v79
	v_cndmask_b32_e64 v80, 3, v80, s4
	v_cmp_ne_u32_e64 s4, 8, v90
	v_lshlrev_b16 v80, 8, v80
	v_cndmask_b32_e64 v82, 3, v21, s4
	v_cmp_ne_u32_e64 s4, 10, v90
	v_or_b32_sdwa v79, v82, v79 dst_sel:DWORD dst_unused:UNUSED_PAD src0_sel:BYTE_0 src1_sel:DWORD
	v_cndmask_b32_e64 v83, 3, v83, s4
	v_cmp_ne_u32_e64 s4, 5, v90
	v_or_b32_sdwa v80, v83, v80 dst_sel:WORD_1 dst_unused:UNUSED_PAD src0_sel:BYTE_0 src1_sel:DWORD
	v_cndmask_b32_e64 v84, 3, v84, s4
	v_cmp_ne_u32_e64 s4, 7, v90
	v_or_b32_sdwa v78, v79, v80 dst_sel:DWORD dst_unused:UNUSED_PAD src0_sel:WORD_0 src1_sel:DWORD
	v_lshlrev_b16 v84, 8, v84
	v_cndmask_b32_e64 v85, 3, v85, s4
	v_cmp_ne_u32_e64 s4, 4, v90
	v_cndmask_b32_e32 v21, v78, v21, vcc_lo
	v_lshlrev_b16 v85, 8, v85
	v_cndmask_b32_e64 v91, 3, v20, s4
	v_cmp_ne_u32_e64 s4, 6, v90
	v_lshrrev_b32_e32 v79, 8, v21
	v_lshrrev_b32_e32 v80, 24, v21
	;; [unrolled: 1-line block ×3, first 2 shown]
	v_or_b32_sdwa v82, v91, v84 dst_sel:DWORD dst_unused:UNUSED_PAD src0_sel:BYTE_0 src1_sel:DWORD
	v_cndmask_b32_e64 v86, 3, v86, s4
	v_cmp_ne_u32_e64 s4, 14, v90
	v_or_b32_sdwa v84, v86, v85 dst_sel:WORD_1 dst_unused:UNUSED_PAD src0_sel:BYTE_0 src1_sel:DWORD
	v_cndmask_b32_e64 v81, 3, v81, s4
	v_cmp_ne_u32_e64 s4, 1, v88
	v_or_b32_sdwa v75, v82, v84 dst_sel:DWORD dst_unused:UNUSED_PAD src0_sel:WORD_0 src1_sel:DWORD
	v_or_b32_sdwa v77, v81, v77 dst_sel:WORD_1 dst_unused:UNUSED_PAD src0_sel:BYTE_0 src1_sel:DWORD
	v_cndmask_b32_e64 v72, 4, v74, s4
	v_cmp_ne_u32_e64 s4, 3, v88
	v_lshrrev_b32_e32 v74, 16, v19
	v_cndmask_b32_e32 v20, v75, v20, vcc_lo
	v_or_b32_sdwa v40, v76, v77 dst_sel:DWORD dst_unused:UNUSED_PAD src0_sel:WORD_0 src1_sel:DWORD
	v_lshlrev_b16 v72, 8, v72
	v_lshrrev_b32_e32 v76, 16, v25
	v_lshrrev_b32_e32 v77, 8, v23
	;; [unrolled: 1-line block ×3, first 2 shown]
	v_cndmask_b32_e32 v22, v40, v22, vcc_lo
	v_lshrrev_b32_e32 v40, 24, v19
	v_cmp_ne_u32_e32 vcc_lo, 21, v88
	v_lshrrev_b32_e32 v85, 24, v20
	v_lshrrev_b32_e32 v86, 16, v20
	;; [unrolled: 1-line block ×3, first 2 shown]
	v_cndmask_b32_e64 v40, 4, v40, s4
	v_cmp_ne_u32_e64 s4, 0, v88
	v_cndmask_b32_e32 v73, 4, v73, vcc_lo
	v_cmp_ne_u32_e32 vcc_lo, 23, v88
	v_lshlrev_b16 v40, 8, v40
	v_cndmask_b32_e64 v75, 4, v19, s4
	v_cmp_ne_u32_e64 s4, 2, v88
	v_lshlrev_b16 v73, 8, v73
	v_or_b32_sdwa v72, v75, v72 dst_sel:DWORD dst_unused:UNUSED_PAD src0_sel:BYTE_0 src1_sel:DWORD
	v_cndmask_b32_e64 v74, 4, v74, s4
	v_lshrrev_b32_e32 v75, 24, v25
	v_cmp_ne_u32_e64 s4, 18, v88
	v_or_b32_sdwa v40, v74, v40 dst_sel:WORD_1 dst_unused:UNUSED_PAD src0_sel:BYTE_0 src1_sel:DWORD
	v_cndmask_b32_e32 v74, 4, v75, vcc_lo
	v_cmp_ne_u32_e32 vcc_lo, 20, v88
	v_or_b32_sdwa v40, v72, v40 dst_sel:DWORD dst_unused:UNUSED_PAD src0_sel:WORD_0 src1_sel:DWORD
	v_lshlrev_b16 v74, 8, v74
	v_cndmask_b32_e32 v75, 4, v25, vcc_lo
	v_cmp_ne_u32_e32 vcc_lo, 22, v88
	v_or_b32_sdwa v72, v75, v73 dst_sel:DWORD dst_unused:UNUSED_PAD src0_sel:BYTE_0 src1_sel:DWORD
	v_cndmask_b32_e32 v76, 4, v76, vcc_lo
	v_cmp_ne_u32_e32 vcc_lo, 17, v88
	v_lshrrev_b32_e32 v75, 24, v23
	v_or_b32_sdwa v74, v76, v74 dst_sel:WORD_1 dst_unused:UNUSED_PAD src0_sel:BYTE_0 src1_sel:DWORD
	v_cndmask_b32_e32 v73, 4, v77, vcc_lo
	v_cmp_ne_u32_e32 vcc_lo, 16, v88
	v_lshrrev_b32_e32 v77, 24, v22
	v_or_b32_sdwa v72, v72, v74 dst_sel:DWORD dst_unused:UNUSED_PAD src0_sel:WORD_0 src1_sel:DWORD
	v_lshlrev_b16 v73, 8, v73
	v_cndmask_b32_e32 v76, 4, v23, vcc_lo
	v_lshrrev_b32_e32 v74, 16, v23
	v_cmp_ne_u32_e32 vcc_lo, 19, v88
	v_or_b32_sdwa v73, v76, v73 dst_sel:DWORD dst_unused:UNUSED_PAD src0_sel:BYTE_0 src1_sel:DWORD
	v_lshrrev_b32_e32 v76, 8, v22
	v_cndmask_b32_e64 v74, 4, v74, s4
	v_cmp_ne_u32_e64 s4, 13, v88
	v_cndmask_b32_e32 v75, 4, v75, vcc_lo
	v_cmp_eq_u32_e32 vcc_lo, 0, v89
	v_cndmask_b32_e64 v76, 4, v76, s4
	v_cmp_ne_u32_e64 s4, 15, v88
	v_lshlrev_b16 v75, 8, v75
	v_cndmask_b32_e32 v19, v40, v19, vcc_lo
	v_cndmask_b32_e32 v25, v72, v25, vcc_lo
	v_lshlrev_b16 v76, 8, v76
	v_cndmask_b32_e64 v77, 4, v77, s4
	v_cmp_ne_u32_e64 s4, 12, v88
	v_or_b32_sdwa v74, v74, v75 dst_sel:WORD_1 dst_unused:UNUSED_PAD src0_sel:BYTE_0 src1_sel:DWORD
	v_lshlrev_b16 v77, 8, v77
	v_cndmask_b32_e64 v78, 4, v22, s4
	v_cmp_ne_u32_e64 s4, 9, v88
	v_or_b32_sdwa v73, v73, v74 dst_sel:DWORD dst_unused:UNUSED_PAD src0_sel:WORD_0 src1_sel:DWORD
	v_lshrrev_b32_e32 v74, 8, v19
	v_or_b32_sdwa v76, v78, v76 dst_sel:DWORD dst_unused:UNUSED_PAD src0_sel:BYTE_0 src1_sel:DWORD
	v_cndmask_b32_e64 v79, 4, v79, s4
	v_cmp_ne_u32_e64 s4, 11, v88
	v_cndmask_b32_e32 v23, v73, v23, vcc_lo
	v_lshrrev_b32_e32 v73, 8, v25
	v_lshlrev_b16 v79, 8, v79
	v_cndmask_b32_e64 v80, 4, v80, s4
	v_cmp_ne_u32_e64 s4, 8, v88
	v_lshlrev_b16 v80, 8, v80
	v_cndmask_b32_e64 v82, 4, v21, s4
	v_cmp_ne_u32_e64 s4, 10, v88
	v_or_b32_sdwa v79, v82, v79 dst_sel:DWORD dst_unused:UNUSED_PAD src0_sel:BYTE_0 src1_sel:DWORD
	v_cndmask_b32_e64 v83, 4, v83, s4
	v_cmp_ne_u32_e64 s4, 5, v88
	v_or_b32_sdwa v80, v83, v80 dst_sel:WORD_1 dst_unused:UNUSED_PAD src0_sel:BYTE_0 src1_sel:DWORD
	v_cndmask_b32_e64 v84, 4, v84, s4
	v_cmp_ne_u32_e64 s4, 7, v88
	v_or_b32_sdwa v78, v79, v80 dst_sel:DWORD dst_unused:UNUSED_PAD src0_sel:WORD_0 src1_sel:DWORD
	v_lshlrev_b16 v84, 8, v84
	v_cndmask_b32_e64 v85, 4, v85, s4
	v_cmp_ne_u32_e64 s4, 4, v88
	v_cndmask_b32_e32 v21, v78, v21, vcc_lo
	v_lshlrev_b16 v85, 8, v85
	v_cndmask_b32_e64 v89, 4, v20, s4
	v_cmp_ne_u32_e64 s4, 6, v88
	v_lshrrev_b32_e32 v79, 8, v21
	v_lshrrev_b32_e32 v80, 24, v21
	;; [unrolled: 1-line block ×3, first 2 shown]
	v_or_b32_sdwa v82, v89, v84 dst_sel:DWORD dst_unused:UNUSED_PAD src0_sel:BYTE_0 src1_sel:DWORD
	v_cndmask_b32_e64 v86, 4, v86, s4
	v_cmp_ne_u32_e64 s4, 14, v88
	v_or_b32_sdwa v84, v86, v85 dst_sel:WORD_1 dst_unused:UNUSED_PAD src0_sel:BYTE_0 src1_sel:DWORD
	v_cndmask_b32_e64 v81, 4, v81, s4
	v_cmp_ne_u32_e64 s4, 1, v71
	v_or_b32_sdwa v75, v82, v84 dst_sel:DWORD dst_unused:UNUSED_PAD src0_sel:WORD_0 src1_sel:DWORD
	v_or_b32_sdwa v77, v81, v77 dst_sel:WORD_1 dst_unused:UNUSED_PAD src0_sel:BYTE_0 src1_sel:DWORD
	v_cndmask_b32_e64 v72, 5, v74, s4
	v_cmp_ne_u32_e64 s4, 3, v71
	v_lshrrev_b32_e32 v74, 16, v19
	v_cndmask_b32_e32 v20, v75, v20, vcc_lo
	v_or_b32_sdwa v40, v76, v77 dst_sel:DWORD dst_unused:UNUSED_PAD src0_sel:WORD_0 src1_sel:DWORD
	v_lshlrev_b16 v72, 8, v72
	v_lshrrev_b32_e32 v76, 16, v25
	v_lshrrev_b32_e32 v77, 8, v23
	v_lshrrev_b32_e32 v84, 8, v20
	v_cndmask_b32_e32 v22, v40, v22, vcc_lo
	v_lshrrev_b32_e32 v40, 24, v19
	v_cmp_ne_u32_e32 vcc_lo, 21, v71
	v_lshrrev_b32_e32 v85, 24, v20
	v_lshrrev_b32_e32 v86, 16, v20
	;; [unrolled: 1-line block ×3, first 2 shown]
	v_cndmask_b32_e64 v40, 5, v40, s4
	v_cmp_ne_u32_e64 s4, 0, v71
	v_cndmask_b32_e32 v73, 5, v73, vcc_lo
	v_cmp_ne_u32_e32 vcc_lo, 23, v71
	v_lshlrev_b16 v40, 8, v40
	v_cndmask_b32_e64 v75, 5, v19, s4
	v_cmp_ne_u32_e64 s4, 2, v71
	v_lshlrev_b16 v73, 8, v73
	v_or_b32_sdwa v72, v75, v72 dst_sel:DWORD dst_unused:UNUSED_PAD src0_sel:BYTE_0 src1_sel:DWORD
	v_cndmask_b32_e64 v74, 5, v74, s4
	v_lshrrev_b32_e32 v75, 24, v25
	v_cmp_ne_u32_e64 s4, 18, v71
	v_or_b32_sdwa v40, v74, v40 dst_sel:WORD_1 dst_unused:UNUSED_PAD src0_sel:BYTE_0 src1_sel:DWORD
	v_cndmask_b32_e32 v74, 5, v75, vcc_lo
	v_cmp_ne_u32_e32 vcc_lo, 20, v71
	v_or_b32_sdwa v40, v72, v40 dst_sel:DWORD dst_unused:UNUSED_PAD src0_sel:WORD_0 src1_sel:DWORD
	v_lshlrev_b16 v74, 8, v74
	v_cndmask_b32_e32 v75, 5, v25, vcc_lo
	v_cmp_ne_u32_e32 vcc_lo, 22, v71
	v_or_b32_sdwa v72, v75, v73 dst_sel:DWORD dst_unused:UNUSED_PAD src0_sel:BYTE_0 src1_sel:DWORD
	v_cndmask_b32_e32 v76, 5, v76, vcc_lo
	v_cmp_ne_u32_e32 vcc_lo, 17, v71
	v_lshrrev_b32_e32 v75, 24, v23
	v_or_b32_sdwa v74, v76, v74 dst_sel:WORD_1 dst_unused:UNUSED_PAD src0_sel:BYTE_0 src1_sel:DWORD
	v_cndmask_b32_e32 v73, 5, v77, vcc_lo
	v_cmp_ne_u32_e32 vcc_lo, 16, v71
	v_lshrrev_b32_e32 v77, 24, v22
	v_or_b32_sdwa v72, v72, v74 dst_sel:DWORD dst_unused:UNUSED_PAD src0_sel:WORD_0 src1_sel:DWORD
	v_lshlrev_b16 v73, 8, v73
	v_cndmask_b32_e32 v76, 5, v23, vcc_lo
	v_lshrrev_b32_e32 v74, 16, v23
	v_cmp_ne_u32_e32 vcc_lo, 19, v71
	v_or_b32_sdwa v73, v76, v73 dst_sel:DWORD dst_unused:UNUSED_PAD src0_sel:BYTE_0 src1_sel:DWORD
	v_lshrrev_b32_e32 v76, 8, v22
	v_cndmask_b32_e64 v74, 5, v74, s4
	v_cmp_ne_u32_e64 s4, 13, v71
	v_cndmask_b32_e32 v75, 5, v75, vcc_lo
	v_cmp_eq_u32_e32 vcc_lo, 0, v87
	v_cndmask_b32_e64 v76, 5, v76, s4
	v_cmp_ne_u32_e64 s4, 15, v71
	v_lshlrev_b16 v75, 8, v75
	v_cndmask_b32_e32 v19, v40, v19, vcc_lo
	v_cndmask_b32_e32 v25, v72, v25, vcc_lo
	v_lshlrev_b16 v76, 8, v76
	v_cndmask_b32_e64 v77, 5, v77, s4
	v_cmp_ne_u32_e64 s4, 12, v71
	v_or_b32_sdwa v74, v74, v75 dst_sel:WORD_1 dst_unused:UNUSED_PAD src0_sel:BYTE_0 src1_sel:DWORD
	v_lshlrev_b16 v77, 8, v77
	v_cndmask_b32_e64 v78, 5, v22, s4
	v_cmp_ne_u32_e64 s4, 9, v71
	v_or_b32_sdwa v76, v78, v76 dst_sel:DWORD dst_unused:UNUSED_PAD src0_sel:BYTE_0 src1_sel:DWORD
	v_cndmask_b32_e64 v79, 5, v79, s4
	v_cmp_ne_u32_e64 s4, 11, v71
	v_lshlrev_b16 v79, 8, v79
	v_cndmask_b32_e64 v80, 5, v80, s4
	v_cmp_ne_u32_e64 s4, 8, v71
	v_lshlrev_b16 v80, 8, v80
	v_cndmask_b32_e64 v82, 5, v21, s4
	v_cmp_ne_u32_e64 s4, 10, v71
	v_or_b32_sdwa v79, v82, v79 dst_sel:DWORD dst_unused:UNUSED_PAD src0_sel:BYTE_0 src1_sel:DWORD
	v_cndmask_b32_e64 v83, 5, v83, s4
	v_cmp_ne_u32_e64 s4, 5, v71
	v_or_b32_sdwa v80, v83, v80 dst_sel:WORD_1 dst_unused:UNUSED_PAD src0_sel:BYTE_0 src1_sel:DWORD
	v_cndmask_b32_e64 v84, 5, v84, s4
	v_cmp_ne_u32_e64 s4, 7, v71
	v_lshlrev_b16 v84, 8, v84
	v_cndmask_b32_e64 v85, 5, v85, s4
	v_cmp_ne_u32_e64 s4, 4, v71
	v_lshlrev_b16 v85, 8, v85
	v_cndmask_b32_e64 v87, 5, v20, s4
	v_cmp_ne_u32_e64 s4, 6, v71
	v_cndmask_b32_e64 v86, 5, v86, s4
	v_cmp_ne_u32_e64 s4, 14, v71
	v_or_b32_sdwa v82, v86, v85 dst_sel:WORD_1 dst_unused:UNUSED_PAD src0_sel:BYTE_0 src1_sel:DWORD
	v_cndmask_b32_e64 v71, 5, v81, s4
	v_cmp_ne_u32_e64 s4, 1, v68
	v_or_b32_sdwa v81, v87, v84 dst_sel:DWORD dst_unused:UNUSED_PAD src0_sel:BYTE_0 src1_sel:DWORD
	v_or_b32_sdwa v71, v71, v77 dst_sel:WORD_1 dst_unused:UNUSED_PAD src0_sel:BYTE_0 src1_sel:DWORD
	v_or_b32_sdwa v77, v79, v80 dst_sel:DWORD dst_unused:UNUSED_PAD src0_sel:WORD_0 src1_sel:DWORD
	v_or_b32_sdwa v75, v81, v82 dst_sel:DWORD dst_unused:UNUSED_PAD src0_sel:WORD_0 src1_sel:DWORD
	;; [unrolled: 1-line block ×4, first 2 shown]
	v_lshrrev_b32_e32 v73, 8, v19
	v_cndmask_b32_e32 v20, v75, v20, vcc_lo
	v_cndmask_b32_e32 v21, v77, v21, vcc_lo
	;; [unrolled: 1-line block ×3, first 2 shown]
	v_lshrrev_b32_e32 v40, 24, v19
	v_cndmask_b32_e64 v72, 6, v73, s4
	v_cmp_ne_u32_e64 s4, 3, v68
	v_lshrrev_b32_e32 v73, 16, v19
	v_cndmask_b32_e32 v23, v71, v23, vcc_lo
	v_lshrrev_b32_e32 v71, 8, v25
	v_lshlrev_b16 v72, 8, v72
	v_cndmask_b32_e64 v40, 6, v40, s4
	v_cmp_ne_u32_e64 s4, 0, v68
	v_cmp_ne_u32_e32 vcc_lo, 21, v68
	v_lshrrev_b32_e32 v75, 16, v25
	v_lshrrev_b32_e32 v76, 8, v23
	v_lshlrev_b16 v40, 8, v40
	v_cndmask_b32_e64 v74, 6, v19, s4
	v_cmp_ne_u32_e64 s4, 2, v68
	v_cndmask_b32_e32 v71, 6, v71, vcc_lo
	v_cmp_ne_u32_e32 vcc_lo, 23, v68
	v_lshrrev_b32_e32 v77, 8, v21
	v_or_b32_sdwa v72, v74, v72 dst_sel:DWORD dst_unused:UNUSED_PAD src0_sel:BYTE_0 src1_sel:DWORD
	v_cndmask_b32_e64 v73, 6, v73, s4
	v_lshrrev_b32_e32 v74, 24, v25
	v_lshlrev_b16 v71, 8, v71
	v_cmp_ne_u32_e64 s4, 18, v68
	v_lshrrev_b32_e32 v78, 24, v21
	v_or_b32_sdwa v40, v73, v40 dst_sel:WORD_1 dst_unused:UNUSED_PAD src0_sel:BYTE_0 src1_sel:DWORD
	v_cndmask_b32_e32 v73, 6, v74, vcc_lo
	v_cmp_ne_u32_e32 vcc_lo, 20, v68
	v_lshrrev_b32_e32 v81, 16, v21
	v_lshrrev_b32_e32 v82, 8, v20
	v_or_b32_sdwa v40, v72, v40 dst_sel:DWORD dst_unused:UNUSED_PAD src0_sel:WORD_0 src1_sel:DWORD
	v_lshlrev_b16 v73, 8, v73
	v_cndmask_b32_e32 v74, 6, v25, vcc_lo
	v_cmp_ne_u32_e32 vcc_lo, 22, v68
	v_lshrrev_b32_e32 v83, 24, v20
	v_lshrrev_b32_e32 v84, 16, v20
	;; [unrolled: 1-line block ×3, first 2 shown]
	v_or_b32_sdwa v71, v74, v71 dst_sel:DWORD dst_unused:UNUSED_PAD src0_sel:BYTE_0 src1_sel:DWORD
	v_cndmask_b32_e32 v75, 6, v75, vcc_lo
	v_cmp_ne_u32_e32 vcc_lo, 17, v68
	v_lshrrev_b32_e32 v74, 24, v23
	v_or_b32_sdwa v73, v75, v73 dst_sel:WORD_1 dst_unused:UNUSED_PAD src0_sel:BYTE_0 src1_sel:DWORD
	v_cndmask_b32_e32 v72, 6, v76, vcc_lo
	v_cmp_ne_u32_e32 vcc_lo, 16, v68
	v_lshlrev_b16 v72, 8, v72
	v_cndmask_b32_e32 v75, 6, v23, vcc_lo
	v_cmp_ne_u32_e32 vcc_lo, 19, v68
	v_cndmask_b32_e32 v74, 6, v74, vcc_lo
	v_cmp_eq_u32_e32 vcc_lo, 0, v70
	v_or_b32_sdwa v70, v71, v73 dst_sel:DWORD dst_unused:UNUSED_PAD src0_sel:WORD_0 src1_sel:DWORD
	v_or_b32_sdwa v71, v75, v72 dst_sel:DWORD dst_unused:UNUSED_PAD src0_sel:BYTE_0 src1_sel:DWORD
	v_lshrrev_b32_e32 v72, 16, v23
	v_lshlrev_b16 v73, 8, v74
	v_lshrrev_b32_e32 v74, 8, v22
	v_lshrrev_b32_e32 v75, 24, v22
	v_cndmask_b32_e32 v19, v40, v19, vcc_lo
	v_cndmask_b32_e64 v72, 6, v72, s4
	v_cmp_ne_u32_e64 s4, 13, v68
	v_cndmask_b32_e32 v25, v70, v25, vcc_lo
	v_or_b32_sdwa v72, v72, v73 dst_sel:WORD_1 dst_unused:UNUSED_PAD src0_sel:BYTE_0 src1_sel:DWORD
	v_cndmask_b32_e64 v74, 6, v74, s4
	v_cmp_ne_u32_e64 s4, 15, v68
	v_lshlrev_b16 v74, 8, v74
	v_cndmask_b32_e64 v75, 6, v75, s4
	v_cmp_ne_u32_e64 s4, 12, v68
	v_lshlrev_b16 v75, 8, v75
	v_cndmask_b32_e64 v76, 6, v22, s4
	v_cmp_ne_u32_e64 s4, 9, v68
	v_or_b32_sdwa v74, v76, v74 dst_sel:DWORD dst_unused:UNUSED_PAD src0_sel:BYTE_0 src1_sel:DWORD
	v_cndmask_b32_e64 v77, 6, v77, s4
	v_cmp_ne_u32_e64 s4, 11, v68
	v_lshlrev_b16 v77, 8, v77
	v_cndmask_b32_e64 v78, 6, v78, s4
	v_cmp_ne_u32_e64 s4, 8, v68
	v_lshlrev_b16 v78, 8, v78
	v_cndmask_b32_e64 v80, 6, v21, s4
	v_cmp_ne_u32_e64 s4, 10, v68
	v_or_b32_sdwa v77, v80, v77 dst_sel:DWORD dst_unused:UNUSED_PAD src0_sel:BYTE_0 src1_sel:DWORD
	v_cndmask_b32_e64 v81, 6, v81, s4
	v_cmp_ne_u32_e64 s4, 5, v68
	v_or_b32_sdwa v78, v81, v78 dst_sel:WORD_1 dst_unused:UNUSED_PAD src0_sel:BYTE_0 src1_sel:DWORD
	v_cndmask_b32_e64 v82, 6, v82, s4
	v_cmp_ne_u32_e64 s4, 7, v68
	v_lshlrev_b16 v82, 8, v82
	v_cndmask_b32_e64 v83, 6, v83, s4
	v_cmp_ne_u32_e64 s4, 4, v68
	v_lshlrev_b16 v83, 8, v83
	v_cndmask_b32_e64 v85, 6, v20, s4
	v_cmp_ne_u32_e64 s4, 6, v68
	v_cndmask_b32_e64 v84, 6, v84, s4
	v_cmp_ne_u32_e64 s4, 14, v68
	v_or_b32_sdwa v80, v84, v83 dst_sel:WORD_1 dst_unused:UNUSED_PAD src0_sel:BYTE_0 src1_sel:DWORD
	v_cndmask_b32_e64 v68, 6, v79, s4
	v_cmp_ne_u32_e64 s4, 1, v66
	v_or_b32_sdwa v79, v85, v82 dst_sel:DWORD dst_unused:UNUSED_PAD src0_sel:BYTE_0 src1_sel:DWORD
	v_or_b32_sdwa v68, v68, v75 dst_sel:WORD_1 dst_unused:UNUSED_PAD src0_sel:BYTE_0 src1_sel:DWORD
	v_or_b32_sdwa v75, v77, v78 dst_sel:DWORD dst_unused:UNUSED_PAD src0_sel:WORD_0 src1_sel:DWORD
	v_or_b32_sdwa v73, v79, v80 dst_sel:DWORD dst_unused:UNUSED_PAD src0_sel:WORD_0 src1_sel:DWORD
	;; [unrolled: 1-line block ×4, first 2 shown]
	v_lshrrev_b32_e32 v71, 8, v19
	v_cndmask_b32_e32 v20, v73, v20, vcc_lo
	v_cndmask_b32_e32 v21, v75, v21, vcc_lo
	v_cndmask_b32_e32 v22, v40, v22, vcc_lo
	v_lshrrev_b32_e32 v40, 24, v19
	v_cndmask_b32_e64 v70, 7, v71, s4
	v_cmp_ne_u32_e64 s4, 3, v66
	v_lshrrev_b32_e32 v71, 16, v19
	v_cndmask_b32_e32 v23, v68, v23, vcc_lo
	v_lshrrev_b32_e32 v68, 8, v25
	v_lshlrev_b16 v70, 8, v70
	v_cndmask_b32_e64 v40, 7, v40, s4
	v_cmp_ne_u32_e64 s4, 0, v66
	v_cmp_ne_u32_e32 vcc_lo, 21, v66
	v_lshrrev_b32_e32 v73, 16, v25
	v_lshrrev_b32_e32 v74, 8, v23
	v_lshlrev_b16 v40, 8, v40
	v_cndmask_b32_e64 v72, 7, v19, s4
	v_cmp_ne_u32_e64 s4, 2, v66
	v_cndmask_b32_e32 v68, 7, v68, vcc_lo
	v_cmp_ne_u32_e32 vcc_lo, 23, v66
	v_lshrrev_b32_e32 v75, 8, v21
	v_or_b32_sdwa v70, v72, v70 dst_sel:DWORD dst_unused:UNUSED_PAD src0_sel:BYTE_0 src1_sel:DWORD
	v_cndmask_b32_e64 v71, 7, v71, s4
	v_lshrrev_b32_e32 v72, 24, v25
	v_lshlrev_b16 v68, 8, v68
	v_cmp_ne_u32_e64 s4, 18, v66
	v_lshrrev_b32_e32 v76, 24, v21
	v_or_b32_sdwa v40, v71, v40 dst_sel:WORD_1 dst_unused:UNUSED_PAD src0_sel:BYTE_0 src1_sel:DWORD
	v_cndmask_b32_e32 v71, 7, v72, vcc_lo
	v_cmp_ne_u32_e32 vcc_lo, 20, v66
	v_lshrrev_b32_e32 v79, 16, v21
	v_lshrrev_b32_e32 v80, 8, v20
	v_or_b32_sdwa v40, v70, v40 dst_sel:DWORD dst_unused:UNUSED_PAD src0_sel:WORD_0 src1_sel:DWORD
	v_lshlrev_b16 v71, 8, v71
	v_cndmask_b32_e32 v72, 7, v25, vcc_lo
	v_cmp_ne_u32_e32 vcc_lo, 22, v66
	v_lshrrev_b32_e32 v81, 24, v20
	v_lshrrev_b32_e32 v82, 16, v20
	;; [unrolled: 1-line block ×3, first 2 shown]
	v_or_b32_sdwa v68, v72, v68 dst_sel:DWORD dst_unused:UNUSED_PAD src0_sel:BYTE_0 src1_sel:DWORD
	v_cndmask_b32_e32 v73, 7, v73, vcc_lo
	v_cmp_ne_u32_e32 vcc_lo, 17, v66
	v_lshrrev_b32_e32 v72, 24, v23
	v_or_b32_sdwa v71, v73, v71 dst_sel:WORD_1 dst_unused:UNUSED_PAD src0_sel:BYTE_0 src1_sel:DWORD
	v_cndmask_b32_e32 v70, 7, v74, vcc_lo
	v_cmp_ne_u32_e32 vcc_lo, 16, v66
	v_lshlrev_b16 v70, 8, v70
	v_cndmask_b32_e32 v73, 7, v23, vcc_lo
	v_cmp_ne_u32_e32 vcc_lo, 19, v66
	v_cndmask_b32_e32 v72, 7, v72, vcc_lo
	v_cmp_eq_u32_e32 vcc_lo, 0, v67
	v_or_b32_sdwa v67, v68, v71 dst_sel:DWORD dst_unused:UNUSED_PAD src0_sel:WORD_0 src1_sel:DWORD
	v_or_b32_sdwa v68, v73, v70 dst_sel:DWORD dst_unused:UNUSED_PAD src0_sel:BYTE_0 src1_sel:DWORD
	v_lshrrev_b32_e32 v70, 16, v23
	v_lshlrev_b16 v71, 8, v72
	v_lshrrev_b32_e32 v72, 8, v22
	v_lshrrev_b32_e32 v73, 24, v22
	v_cndmask_b32_e32 v19, v40, v19, vcc_lo
	v_cndmask_b32_e64 v70, 7, v70, s4
	v_cmp_ne_u32_e64 s4, 13, v66
	v_cndmask_b32_e32 v25, v67, v25, vcc_lo
	v_or_b32_sdwa v70, v70, v71 dst_sel:WORD_1 dst_unused:UNUSED_PAD src0_sel:BYTE_0 src1_sel:DWORD
	v_cndmask_b32_e64 v72, 7, v72, s4
	v_cmp_ne_u32_e64 s4, 15, v66
	v_lshlrev_b16 v72, 8, v72
	v_cndmask_b32_e64 v73, 7, v73, s4
	v_cmp_ne_u32_e64 s4, 12, v66
	v_lshlrev_b16 v73, 8, v73
	v_cndmask_b32_e64 v74, 7, v22, s4
	v_cmp_ne_u32_e64 s4, 9, v66
	v_or_b32_sdwa v72, v74, v72 dst_sel:DWORD dst_unused:UNUSED_PAD src0_sel:BYTE_0 src1_sel:DWORD
	v_cndmask_b32_e64 v75, 7, v75, s4
	v_cmp_ne_u32_e64 s4, 11, v66
	v_lshlrev_b16 v75, 8, v75
	v_cndmask_b32_e64 v76, 7, v76, s4
	v_cmp_ne_u32_e64 s4, 8, v66
	v_lshlrev_b16 v76, 8, v76
	v_cndmask_b32_e64 v78, 7, v21, s4
	v_cmp_ne_u32_e64 s4, 10, v66
	v_or_b32_sdwa v75, v78, v75 dst_sel:DWORD dst_unused:UNUSED_PAD src0_sel:BYTE_0 src1_sel:DWORD
	v_cndmask_b32_e64 v79, 7, v79, s4
	v_cmp_ne_u32_e64 s4, 5, v66
	v_or_b32_sdwa v76, v79, v76 dst_sel:WORD_1 dst_unused:UNUSED_PAD src0_sel:BYTE_0 src1_sel:DWORD
	v_cndmask_b32_e64 v80, 7, v80, s4
	v_cmp_ne_u32_e64 s4, 7, v66
	v_lshlrev_b16 v80, 8, v80
	v_cndmask_b32_e64 v81, 7, v81, s4
	v_cmp_ne_u32_e64 s4, 4, v66
	v_lshlrev_b16 v81, 8, v81
	v_cndmask_b32_e64 v83, 7, v20, s4
	v_cmp_ne_u32_e64 s4, 6, v66
	v_cndmask_b32_e64 v82, 7, v82, s4
	v_cmp_ne_u32_e64 s4, 14, v66
	v_or_b32_sdwa v78, v82, v81 dst_sel:WORD_1 dst_unused:UNUSED_PAD src0_sel:BYTE_0 src1_sel:DWORD
	v_cndmask_b32_e64 v66, 7, v77, s4
	v_cmp_ne_u32_e64 s4, 1, v64
	v_or_b32_sdwa v77, v83, v80 dst_sel:DWORD dst_unused:UNUSED_PAD src0_sel:BYTE_0 src1_sel:DWORD
	v_or_b32_sdwa v66, v66, v73 dst_sel:WORD_1 dst_unused:UNUSED_PAD src0_sel:BYTE_0 src1_sel:DWORD
	v_or_b32_sdwa v73, v75, v76 dst_sel:DWORD dst_unused:UNUSED_PAD src0_sel:WORD_0 src1_sel:DWORD
	v_or_b32_sdwa v71, v77, v78 dst_sel:DWORD dst_unused:UNUSED_PAD src0_sel:WORD_0 src1_sel:DWORD
	;; [unrolled: 1-line block ×4, first 2 shown]
	v_lshrrev_b32_e32 v68, 8, v19
	v_cndmask_b32_e32 v20, v71, v20, vcc_lo
	v_cndmask_b32_e32 v21, v73, v21, vcc_lo
	v_cndmask_b32_e32 v22, v40, v22, vcc_lo
	v_lshrrev_b32_e32 v40, 24, v19
	v_cndmask_b32_e64 v67, 8, v68, s4
	v_cmp_ne_u32_e64 s4, 3, v64
	v_lshrrev_b32_e32 v68, 16, v19
	v_cndmask_b32_e32 v23, v66, v23, vcc_lo
	v_lshrrev_b32_e32 v66, 8, v25
	v_lshlrev_b16 v67, 8, v67
	v_cndmask_b32_e64 v40, 8, v40, s4
	v_cmp_ne_u32_e64 s4, 0, v64
	v_cmp_ne_u32_e32 vcc_lo, 21, v64
	v_lshrrev_b32_e32 v71, 16, v25
	v_lshrrev_b32_e32 v72, 8, v23
	v_lshlrev_b16 v40, 8, v40
	v_cndmask_b32_e64 v70, 8, v19, s4
	v_cmp_ne_u32_e64 s4, 2, v64
	v_cndmask_b32_e32 v66, 8, v66, vcc_lo
	v_cmp_ne_u32_e32 vcc_lo, 23, v64
	v_lshrrev_b32_e32 v73, 8, v21
	v_or_b32_sdwa v67, v70, v67 dst_sel:DWORD dst_unused:UNUSED_PAD src0_sel:BYTE_0 src1_sel:DWORD
	v_cndmask_b32_e64 v68, 8, v68, s4
	v_lshrrev_b32_e32 v70, 24, v25
	v_lshlrev_b16 v66, 8, v66
	v_cmp_ne_u32_e64 s4, 18, v64
	v_lshrrev_b32_e32 v74, 24, v21
	v_or_b32_sdwa v40, v68, v40 dst_sel:WORD_1 dst_unused:UNUSED_PAD src0_sel:BYTE_0 src1_sel:DWORD
	v_cndmask_b32_e32 v68, 8, v70, vcc_lo
	v_cmp_ne_u32_e32 vcc_lo, 20, v64
	v_lshrrev_b32_e32 v77, 16, v21
	v_lshrrev_b32_e32 v78, 8, v20
	v_or_b32_sdwa v40, v67, v40 dst_sel:DWORD dst_unused:UNUSED_PAD src0_sel:WORD_0 src1_sel:DWORD
	v_lshlrev_b16 v68, 8, v68
	v_cndmask_b32_e32 v70, 8, v25, vcc_lo
	v_cmp_ne_u32_e32 vcc_lo, 22, v64
	v_lshrrev_b32_e32 v79, 24, v20
	v_lshrrev_b32_e32 v80, 16, v20
	;; [unrolled: 1-line block ×3, first 2 shown]
	v_or_b32_sdwa v66, v70, v66 dst_sel:DWORD dst_unused:UNUSED_PAD src0_sel:BYTE_0 src1_sel:DWORD
	v_cndmask_b32_e32 v71, 8, v71, vcc_lo
	v_cmp_ne_u32_e32 vcc_lo, 17, v64
	v_lshrrev_b32_e32 v70, 24, v23
	v_or_b32_sdwa v68, v71, v68 dst_sel:WORD_1 dst_unused:UNUSED_PAD src0_sel:BYTE_0 src1_sel:DWORD
	v_cndmask_b32_e32 v67, 8, v72, vcc_lo
	v_cmp_ne_u32_e32 vcc_lo, 16, v64
	v_lshlrev_b16 v67, 8, v67
	v_cndmask_b32_e32 v71, 8, v23, vcc_lo
	v_cmp_ne_u32_e32 vcc_lo, 19, v64
	v_cndmask_b32_e32 v70, 8, v70, vcc_lo
	v_cmp_eq_u32_e32 vcc_lo, 0, v65
	v_or_b32_sdwa v65, v66, v68 dst_sel:DWORD dst_unused:UNUSED_PAD src0_sel:WORD_0 src1_sel:DWORD
	v_or_b32_sdwa v66, v71, v67 dst_sel:DWORD dst_unused:UNUSED_PAD src0_sel:BYTE_0 src1_sel:DWORD
	v_lshrrev_b32_e32 v67, 16, v23
	v_lshlrev_b16 v68, 8, v70
	v_lshrrev_b32_e32 v70, 8, v22
	v_lshrrev_b32_e32 v71, 24, v22
	v_cndmask_b32_e32 v19, v40, v19, vcc_lo
	v_cndmask_b32_e64 v67, 8, v67, s4
	v_cmp_ne_u32_e64 s4, 13, v64
	v_cndmask_b32_e32 v25, v65, v25, vcc_lo
	v_or_b32_sdwa v67, v67, v68 dst_sel:WORD_1 dst_unused:UNUSED_PAD src0_sel:BYTE_0 src1_sel:DWORD
	v_cndmask_b32_e64 v70, 8, v70, s4
	v_cmp_ne_u32_e64 s4, 15, v64
	v_lshlrev_b16 v70, 8, v70
	v_cndmask_b32_e64 v71, 8, v71, s4
	v_cmp_ne_u32_e64 s4, 12, v64
	v_lshlrev_b16 v71, 8, v71
	v_cndmask_b32_e64 v72, 8, v22, s4
	v_cmp_ne_u32_e64 s4, 9, v64
	v_or_b32_sdwa v70, v72, v70 dst_sel:DWORD dst_unused:UNUSED_PAD src0_sel:BYTE_0 src1_sel:DWORD
	v_cndmask_b32_e64 v73, 8, v73, s4
	v_cmp_ne_u32_e64 s4, 11, v64
	v_lshlrev_b16 v73, 8, v73
	v_cndmask_b32_e64 v74, 8, v74, s4
	v_cmp_ne_u32_e64 s4, 8, v64
	v_lshlrev_b16 v74, 8, v74
	v_cndmask_b32_e64 v76, 8, v21, s4
	v_cmp_ne_u32_e64 s4, 10, v64
	v_or_b32_sdwa v73, v76, v73 dst_sel:DWORD dst_unused:UNUSED_PAD src0_sel:BYTE_0 src1_sel:DWORD
	v_cndmask_b32_e64 v77, 8, v77, s4
	v_cmp_ne_u32_e64 s4, 5, v64
	v_or_b32_sdwa v74, v77, v74 dst_sel:WORD_1 dst_unused:UNUSED_PAD src0_sel:BYTE_0 src1_sel:DWORD
	v_cndmask_b32_e64 v78, 8, v78, s4
	v_cmp_ne_u32_e64 s4, 7, v64
	v_lshlrev_b16 v78, 8, v78
	v_cndmask_b32_e64 v79, 8, v79, s4
	v_cmp_ne_u32_e64 s4, 4, v64
	v_lshlrev_b16 v79, 8, v79
	v_cndmask_b32_e64 v81, 8, v20, s4
	v_cmp_ne_u32_e64 s4, 6, v64
	v_cndmask_b32_e64 v80, 8, v80, s4
	v_cmp_ne_u32_e64 s4, 14, v64
	v_or_b32_sdwa v76, v80, v79 dst_sel:WORD_1 dst_unused:UNUSED_PAD src0_sel:BYTE_0 src1_sel:DWORD
	v_cndmask_b32_e64 v64, 8, v75, s4
	v_cmp_ne_u32_e64 s4, 1, v62
	v_or_b32_sdwa v75, v81, v78 dst_sel:DWORD dst_unused:UNUSED_PAD src0_sel:BYTE_0 src1_sel:DWORD
	v_or_b32_sdwa v64, v64, v71 dst_sel:WORD_1 dst_unused:UNUSED_PAD src0_sel:BYTE_0 src1_sel:DWORD
	v_or_b32_sdwa v71, v73, v74 dst_sel:DWORD dst_unused:UNUSED_PAD src0_sel:WORD_0 src1_sel:DWORD
	v_or_b32_sdwa v68, v75, v76 dst_sel:DWORD dst_unused:UNUSED_PAD src0_sel:WORD_0 src1_sel:DWORD
	;; [unrolled: 1-line block ×4, first 2 shown]
	v_lshrrev_b32_e32 v66, 8, v19
	v_cndmask_b32_e32 v20, v68, v20, vcc_lo
	v_cndmask_b32_e32 v21, v71, v21, vcc_lo
	;; [unrolled: 1-line block ×3, first 2 shown]
	v_lshrrev_b32_e32 v40, 24, v19
	v_cndmask_b32_e64 v65, 9, v66, s4
	v_cmp_ne_u32_e64 s4, 3, v62
	v_lshrrev_b32_e32 v66, 16, v19
	v_cndmask_b32_e32 v23, v64, v23, vcc_lo
	v_lshrrev_b32_e32 v64, 8, v25
	v_lshlrev_b16 v65, 8, v65
	v_cndmask_b32_e64 v40, 9, v40, s4
	v_cmp_ne_u32_e64 s4, 0, v62
	v_cmp_ne_u32_e32 vcc_lo, 21, v62
	v_lshrrev_b32_e32 v68, 16, v25
	v_lshrrev_b32_e32 v70, 8, v23
	v_lshlrev_b16 v40, 8, v40
	v_cndmask_b32_e64 v67, 9, v19, s4
	v_cmp_ne_u32_e64 s4, 2, v62
	v_cndmask_b32_e32 v64, 9, v64, vcc_lo
	v_cmp_ne_u32_e32 vcc_lo, 23, v62
	v_lshrrev_b32_e32 v71, 8, v21
	v_or_b32_sdwa v65, v67, v65 dst_sel:DWORD dst_unused:UNUSED_PAD src0_sel:BYTE_0 src1_sel:DWORD
	v_cndmask_b32_e64 v66, 9, v66, s4
	v_lshrrev_b32_e32 v67, 24, v25
	v_lshlrev_b16 v64, 8, v64
	v_cmp_ne_u32_e64 s4, 18, v62
	v_lshrrev_b32_e32 v72, 24, v21
	v_or_b32_sdwa v40, v66, v40 dst_sel:WORD_1 dst_unused:UNUSED_PAD src0_sel:BYTE_0 src1_sel:DWORD
	v_cndmask_b32_e32 v66, 9, v67, vcc_lo
	v_cmp_ne_u32_e32 vcc_lo, 20, v62
	v_lshrrev_b32_e32 v75, 16, v21
	v_lshrrev_b32_e32 v76, 8, v20
	v_or_b32_sdwa v40, v65, v40 dst_sel:DWORD dst_unused:UNUSED_PAD src0_sel:WORD_0 src1_sel:DWORD
	v_lshlrev_b16 v66, 8, v66
	v_cndmask_b32_e32 v67, 9, v25, vcc_lo
	v_cmp_ne_u32_e32 vcc_lo, 22, v62
	v_lshrrev_b32_e32 v77, 24, v20
	v_lshrrev_b32_e32 v78, 16, v20
	;; [unrolled: 1-line block ×3, first 2 shown]
	v_or_b32_sdwa v64, v67, v64 dst_sel:DWORD dst_unused:UNUSED_PAD src0_sel:BYTE_0 src1_sel:DWORD
	v_cndmask_b32_e32 v68, 9, v68, vcc_lo
	v_cmp_ne_u32_e32 vcc_lo, 17, v62
	v_lshrrev_b32_e32 v67, 24, v23
	v_or_b32_sdwa v66, v68, v66 dst_sel:WORD_1 dst_unused:UNUSED_PAD src0_sel:BYTE_0 src1_sel:DWORD
	v_cndmask_b32_e32 v65, 9, v70, vcc_lo
	v_cmp_ne_u32_e32 vcc_lo, 16, v62
	v_lshlrev_b16 v65, 8, v65
	v_cndmask_b32_e32 v68, 9, v23, vcc_lo
	v_cmp_ne_u32_e32 vcc_lo, 19, v62
	v_cndmask_b32_e32 v67, 9, v67, vcc_lo
	v_cmp_eq_u32_e32 vcc_lo, 0, v63
	v_or_b32_sdwa v63, v64, v66 dst_sel:DWORD dst_unused:UNUSED_PAD src0_sel:WORD_0 src1_sel:DWORD
	v_or_b32_sdwa v64, v68, v65 dst_sel:DWORD dst_unused:UNUSED_PAD src0_sel:BYTE_0 src1_sel:DWORD
	v_lshrrev_b32_e32 v65, 16, v23
	v_lshlrev_b16 v66, 8, v67
	v_lshrrev_b32_e32 v67, 8, v22
	v_lshrrev_b32_e32 v68, 24, v22
	v_cndmask_b32_e32 v19, v40, v19, vcc_lo
	v_cndmask_b32_e64 v65, 9, v65, s4
	v_cmp_ne_u32_e64 s4, 13, v62
	v_cndmask_b32_e32 v25, v63, v25, vcc_lo
	v_or_b32_sdwa v65, v65, v66 dst_sel:WORD_1 dst_unused:UNUSED_PAD src0_sel:BYTE_0 src1_sel:DWORD
	v_cndmask_b32_e64 v67, 9, v67, s4
	v_cmp_ne_u32_e64 s4, 15, v62
	v_lshlrev_b16 v67, 8, v67
	v_cndmask_b32_e64 v68, 9, v68, s4
	v_cmp_ne_u32_e64 s4, 12, v62
	v_lshlrev_b16 v68, 8, v68
	v_cndmask_b32_e64 v70, 9, v22, s4
	v_cmp_ne_u32_e64 s4, 9, v62
	v_or_b32_sdwa v67, v70, v67 dst_sel:DWORD dst_unused:UNUSED_PAD src0_sel:BYTE_0 src1_sel:DWORD
	v_cndmask_b32_e64 v71, 9, v71, s4
	v_cmp_ne_u32_e64 s4, 11, v62
	v_lshlrev_b16 v71, 8, v71
	v_cndmask_b32_e64 v72, 9, v72, s4
	v_cmp_ne_u32_e64 s4, 8, v62
	v_lshlrev_b16 v72, 8, v72
	v_cndmask_b32_e64 v74, 9, v21, s4
	v_cmp_ne_u32_e64 s4, 10, v62
	v_or_b32_sdwa v71, v74, v71 dst_sel:DWORD dst_unused:UNUSED_PAD src0_sel:BYTE_0 src1_sel:DWORD
	v_cndmask_b32_e64 v75, 9, v75, s4
	v_cmp_ne_u32_e64 s4, 5, v62
	v_or_b32_sdwa v72, v75, v72 dst_sel:WORD_1 dst_unused:UNUSED_PAD src0_sel:BYTE_0 src1_sel:DWORD
	v_cndmask_b32_e64 v76, 9, v76, s4
	v_cmp_ne_u32_e64 s4, 7, v62
	v_lshlrev_b16 v76, 8, v76
	v_cndmask_b32_e64 v77, 9, v77, s4
	v_cmp_ne_u32_e64 s4, 4, v62
	v_lshlrev_b16 v77, 8, v77
	v_cndmask_b32_e64 v79, 9, v20, s4
	v_cmp_ne_u32_e64 s4, 6, v62
	v_cndmask_b32_e64 v78, 9, v78, s4
	v_cmp_ne_u32_e64 s4, 14, v62
	v_or_b32_sdwa v74, v78, v77 dst_sel:WORD_1 dst_unused:UNUSED_PAD src0_sel:BYTE_0 src1_sel:DWORD
	v_cndmask_b32_e64 v62, 9, v73, s4
	v_cmp_ne_u32_e64 s4, 1, v60
	v_or_b32_sdwa v73, v79, v76 dst_sel:DWORD dst_unused:UNUSED_PAD src0_sel:BYTE_0 src1_sel:DWORD
	v_or_b32_sdwa v62, v62, v68 dst_sel:WORD_1 dst_unused:UNUSED_PAD src0_sel:BYTE_0 src1_sel:DWORD
	v_or_b32_sdwa v68, v71, v72 dst_sel:DWORD dst_unused:UNUSED_PAD src0_sel:WORD_0 src1_sel:DWORD
	v_or_b32_sdwa v66, v73, v74 dst_sel:DWORD dst_unused:UNUSED_PAD src0_sel:WORD_0 src1_sel:DWORD
	;; [unrolled: 1-line block ×4, first 2 shown]
	v_lshrrev_b32_e32 v64, 8, v19
	v_cndmask_b32_e32 v20, v66, v20, vcc_lo
	v_cndmask_b32_e32 v21, v68, v21, vcc_lo
	;; [unrolled: 1-line block ×3, first 2 shown]
	v_lshrrev_b32_e32 v40, 24, v19
	v_cndmask_b32_e64 v63, 10, v64, s4
	v_cmp_ne_u32_e64 s4, 3, v60
	v_lshrrev_b32_e32 v64, 16, v19
	v_cndmask_b32_e32 v23, v62, v23, vcc_lo
	v_lshrrev_b32_e32 v62, 8, v25
	v_lshlrev_b16 v63, 8, v63
	v_cndmask_b32_e64 v40, 10, v40, s4
	v_cmp_ne_u32_e64 s4, 0, v60
	v_cmp_ne_u32_e32 vcc_lo, 21, v60
	v_lshrrev_b32_e32 v66, 16, v25
	v_lshrrev_b32_e32 v67, 8, v23
	v_lshlrev_b16 v40, 8, v40
	v_cndmask_b32_e64 v65, 10, v19, s4
	v_cmp_ne_u32_e64 s4, 2, v60
	v_cndmask_b32_e32 v62, 10, v62, vcc_lo
	v_cmp_ne_u32_e32 vcc_lo, 23, v60
	v_lshrrev_b32_e32 v68, 8, v21
	v_or_b32_sdwa v63, v65, v63 dst_sel:DWORD dst_unused:UNUSED_PAD src0_sel:BYTE_0 src1_sel:DWORD
	v_cndmask_b32_e64 v64, 10, v64, s4
	v_lshrrev_b32_e32 v65, 24, v25
	v_lshlrev_b16 v62, 8, v62
	v_cmp_ne_u32_e64 s4, 18, v60
	v_lshrrev_b32_e32 v70, 24, v21
	v_or_b32_sdwa v40, v64, v40 dst_sel:WORD_1 dst_unused:UNUSED_PAD src0_sel:BYTE_0 src1_sel:DWORD
	v_cndmask_b32_e32 v64, 10, v65, vcc_lo
	v_cmp_ne_u32_e32 vcc_lo, 20, v60
	v_lshrrev_b32_e32 v73, 16, v21
	v_lshrrev_b32_e32 v74, 8, v20
	v_or_b32_sdwa v40, v63, v40 dst_sel:DWORD dst_unused:UNUSED_PAD src0_sel:WORD_0 src1_sel:DWORD
	v_lshlrev_b16 v64, 8, v64
	v_cndmask_b32_e32 v65, 10, v25, vcc_lo
	v_cmp_ne_u32_e32 vcc_lo, 22, v60
	v_lshrrev_b32_e32 v75, 24, v20
	v_lshrrev_b32_e32 v76, 16, v20
	;; [unrolled: 1-line block ×3, first 2 shown]
	v_or_b32_sdwa v62, v65, v62 dst_sel:DWORD dst_unused:UNUSED_PAD src0_sel:BYTE_0 src1_sel:DWORD
	v_cndmask_b32_e32 v66, 10, v66, vcc_lo
	v_cmp_ne_u32_e32 vcc_lo, 17, v60
	v_lshrrev_b32_e32 v65, 24, v23
	v_or_b32_sdwa v64, v66, v64 dst_sel:WORD_1 dst_unused:UNUSED_PAD src0_sel:BYTE_0 src1_sel:DWORD
	v_cndmask_b32_e32 v63, 10, v67, vcc_lo
	v_cmp_ne_u32_e32 vcc_lo, 16, v60
	v_lshlrev_b16 v63, 8, v63
	v_cndmask_b32_e32 v66, 10, v23, vcc_lo
	v_cmp_ne_u32_e32 vcc_lo, 19, v60
	v_cndmask_b32_e32 v65, 10, v65, vcc_lo
	v_cmp_eq_u32_e32 vcc_lo, 0, v61
	v_or_b32_sdwa v61, v62, v64 dst_sel:DWORD dst_unused:UNUSED_PAD src0_sel:WORD_0 src1_sel:DWORD
	v_or_b32_sdwa v62, v66, v63 dst_sel:DWORD dst_unused:UNUSED_PAD src0_sel:BYTE_0 src1_sel:DWORD
	v_lshrrev_b32_e32 v63, 16, v23
	v_lshlrev_b16 v64, 8, v65
	v_lshrrev_b32_e32 v65, 8, v22
	v_lshrrev_b32_e32 v66, 24, v22
	v_cndmask_b32_e32 v19, v40, v19, vcc_lo
	v_cndmask_b32_e64 v63, 10, v63, s4
	v_cmp_ne_u32_e64 s4, 13, v60
	v_cndmask_b32_e32 v25, v61, v25, vcc_lo
	v_or_b32_sdwa v63, v63, v64 dst_sel:WORD_1 dst_unused:UNUSED_PAD src0_sel:BYTE_0 src1_sel:DWORD
	v_cndmask_b32_e64 v65, 10, v65, s4
	v_cmp_ne_u32_e64 s4, 15, v60
	v_lshlrev_b16 v65, 8, v65
	v_cndmask_b32_e64 v66, 10, v66, s4
	v_cmp_ne_u32_e64 s4, 12, v60
	v_lshlrev_b16 v66, 8, v66
	v_cndmask_b32_e64 v67, 10, v22, s4
	v_cmp_ne_u32_e64 s4, 9, v60
	v_or_b32_sdwa v65, v67, v65 dst_sel:DWORD dst_unused:UNUSED_PAD src0_sel:BYTE_0 src1_sel:DWORD
	v_cndmask_b32_e64 v68, 10, v68, s4
	v_cmp_ne_u32_e64 s4, 11, v60
	v_lshlrev_b16 v68, 8, v68
	v_cndmask_b32_e64 v70, 10, v70, s4
	v_cmp_ne_u32_e64 s4, 8, v60
	v_lshlrev_b16 v70, 8, v70
	v_cndmask_b32_e64 v72, 10, v21, s4
	v_cmp_ne_u32_e64 s4, 10, v60
	v_or_b32_sdwa v68, v72, v68 dst_sel:DWORD dst_unused:UNUSED_PAD src0_sel:BYTE_0 src1_sel:DWORD
	v_cndmask_b32_e64 v73, 10, v73, s4
	v_cmp_ne_u32_e64 s4, 5, v60
	v_or_b32_sdwa v70, v73, v70 dst_sel:WORD_1 dst_unused:UNUSED_PAD src0_sel:BYTE_0 src1_sel:DWORD
	v_cndmask_b32_e64 v74, 10, v74, s4
	v_cmp_ne_u32_e64 s4, 7, v60
	v_lshlrev_b16 v74, 8, v74
	v_cndmask_b32_e64 v75, 10, v75, s4
	v_cmp_ne_u32_e64 s4, 4, v60
	v_lshlrev_b16 v75, 8, v75
	v_cndmask_b32_e64 v77, 10, v20, s4
	v_cmp_ne_u32_e64 s4, 6, v60
	v_cndmask_b32_e64 v76, 10, v76, s4
	v_cmp_ne_u32_e64 s4, 14, v60
	v_or_b32_sdwa v72, v76, v75 dst_sel:WORD_1 dst_unused:UNUSED_PAD src0_sel:BYTE_0 src1_sel:DWORD
	v_cndmask_b32_e64 v60, 10, v71, s4
	v_cmp_ne_u32_e64 s4, 1, v58
	v_or_b32_sdwa v71, v77, v74 dst_sel:DWORD dst_unused:UNUSED_PAD src0_sel:BYTE_0 src1_sel:DWORD
	v_or_b32_sdwa v60, v60, v66 dst_sel:WORD_1 dst_unused:UNUSED_PAD src0_sel:BYTE_0 src1_sel:DWORD
	v_or_b32_sdwa v66, v68, v70 dst_sel:DWORD dst_unused:UNUSED_PAD src0_sel:WORD_0 src1_sel:DWORD
	v_or_b32_sdwa v64, v71, v72 dst_sel:DWORD dst_unused:UNUSED_PAD src0_sel:WORD_0 src1_sel:DWORD
	;; [unrolled: 1-line block ×4, first 2 shown]
	v_lshrrev_b32_e32 v62, 8, v19
	v_cndmask_b32_e32 v20, v64, v20, vcc_lo
	v_cndmask_b32_e32 v21, v66, v21, vcc_lo
	;; [unrolled: 1-line block ×3, first 2 shown]
	v_lshrrev_b32_e32 v40, 24, v19
	v_cndmask_b32_e64 v61, 11, v62, s4
	v_cmp_ne_u32_e64 s4, 3, v58
	v_lshrrev_b32_e32 v62, 16, v19
	v_cndmask_b32_e32 v23, v60, v23, vcc_lo
	v_lshrrev_b32_e32 v60, 8, v25
	v_lshlrev_b16 v61, 8, v61
	v_cndmask_b32_e64 v40, 11, v40, s4
	v_cmp_ne_u32_e64 s4, 0, v58
	v_cmp_ne_u32_e32 vcc_lo, 21, v58
	v_lshrrev_b32_e32 v64, 16, v25
	v_lshrrev_b32_e32 v65, 8, v23
	v_lshlrev_b16 v40, 8, v40
	v_cndmask_b32_e64 v63, 11, v19, s4
	v_cmp_ne_u32_e64 s4, 2, v58
	v_cndmask_b32_e32 v60, 11, v60, vcc_lo
	v_cmp_ne_u32_e32 vcc_lo, 23, v58
	v_lshrrev_b32_e32 v66, 8, v21
	v_or_b32_sdwa v61, v63, v61 dst_sel:DWORD dst_unused:UNUSED_PAD src0_sel:BYTE_0 src1_sel:DWORD
	v_cndmask_b32_e64 v62, 11, v62, s4
	v_lshrrev_b32_e32 v63, 24, v25
	v_lshlrev_b16 v60, 8, v60
	v_cmp_ne_u32_e64 s4, 18, v58
	v_lshrrev_b32_e32 v67, 24, v21
	v_or_b32_sdwa v40, v62, v40 dst_sel:WORD_1 dst_unused:UNUSED_PAD src0_sel:BYTE_0 src1_sel:DWORD
	v_cndmask_b32_e32 v62, 11, v63, vcc_lo
	v_cmp_ne_u32_e32 vcc_lo, 20, v58
	v_lshrrev_b32_e32 v71, 16, v21
	v_lshrrev_b32_e32 v72, 8, v20
	v_or_b32_sdwa v40, v61, v40 dst_sel:DWORD dst_unused:UNUSED_PAD src0_sel:WORD_0 src1_sel:DWORD
	v_lshlrev_b16 v62, 8, v62
	v_cndmask_b32_e32 v63, 11, v25, vcc_lo
	v_cmp_ne_u32_e32 vcc_lo, 22, v58
	v_lshrrev_b32_e32 v73, 24, v20
	v_lshrrev_b32_e32 v74, 16, v20
	;; [unrolled: 1-line block ×3, first 2 shown]
	v_or_b32_sdwa v60, v63, v60 dst_sel:DWORD dst_unused:UNUSED_PAD src0_sel:BYTE_0 src1_sel:DWORD
	v_cndmask_b32_e32 v64, 11, v64, vcc_lo
	v_cmp_ne_u32_e32 vcc_lo, 17, v58
	v_lshrrev_b32_e32 v63, 24, v23
	v_or_b32_sdwa v62, v64, v62 dst_sel:WORD_1 dst_unused:UNUSED_PAD src0_sel:BYTE_0 src1_sel:DWORD
	v_cndmask_b32_e32 v61, 11, v65, vcc_lo
	v_cmp_ne_u32_e32 vcc_lo, 16, v58
	v_lshlrev_b16 v61, 8, v61
	v_cndmask_b32_e32 v64, 11, v23, vcc_lo
	v_cmp_ne_u32_e32 vcc_lo, 19, v58
	v_cndmask_b32_e32 v63, 11, v63, vcc_lo
	v_cmp_eq_u32_e32 vcc_lo, 0, v59
	v_or_b32_sdwa v59, v60, v62 dst_sel:DWORD dst_unused:UNUSED_PAD src0_sel:WORD_0 src1_sel:DWORD
	v_or_b32_sdwa v60, v64, v61 dst_sel:DWORD dst_unused:UNUSED_PAD src0_sel:BYTE_0 src1_sel:DWORD
	v_lshrrev_b32_e32 v61, 16, v23
	v_lshlrev_b16 v62, 8, v63
	v_lshrrev_b32_e32 v63, 8, v22
	v_lshrrev_b32_e32 v64, 24, v22
	v_cndmask_b32_e32 v19, v40, v19, vcc_lo
	v_cndmask_b32_e64 v61, 11, v61, s4
	v_cmp_ne_u32_e64 s4, 13, v58
	v_cndmask_b32_e32 v25, v59, v25, vcc_lo
	v_or_b32_sdwa v61, v61, v62 dst_sel:WORD_1 dst_unused:UNUSED_PAD src0_sel:BYTE_0 src1_sel:DWORD
	v_cndmask_b32_e64 v63, 11, v63, s4
	v_cmp_ne_u32_e64 s4, 15, v58
	v_lshlrev_b16 v63, 8, v63
	v_cndmask_b32_e64 v64, 11, v64, s4
	v_cmp_ne_u32_e64 s4, 12, v58
	v_lshlrev_b16 v64, 8, v64
	v_cndmask_b32_e64 v65, 11, v22, s4
	v_cmp_ne_u32_e64 s4, 9, v58
	v_or_b32_sdwa v63, v65, v63 dst_sel:DWORD dst_unused:UNUSED_PAD src0_sel:BYTE_0 src1_sel:DWORD
	v_cndmask_b32_e64 v66, 11, v66, s4
	v_cmp_ne_u32_e64 s4, 11, v58
	v_lshlrev_b16 v66, 8, v66
	v_cndmask_b32_e64 v67, 11, v67, s4
	v_cmp_ne_u32_e64 s4, 8, v58
	v_lshlrev_b16 v67, 8, v67
	v_cndmask_b32_e64 v70, 11, v21, s4
	v_cmp_ne_u32_e64 s4, 10, v58
	v_or_b32_sdwa v66, v70, v66 dst_sel:DWORD dst_unused:UNUSED_PAD src0_sel:BYTE_0 src1_sel:DWORD
	v_cndmask_b32_e64 v71, 11, v71, s4
	v_cmp_ne_u32_e64 s4, 5, v58
	v_or_b32_sdwa v67, v71, v67 dst_sel:WORD_1 dst_unused:UNUSED_PAD src0_sel:BYTE_0 src1_sel:DWORD
	v_cndmask_b32_e64 v72, 11, v72, s4
	v_cmp_ne_u32_e64 s4, 7, v58
	v_lshlrev_b16 v72, 8, v72
	v_cndmask_b32_e64 v73, 11, v73, s4
	v_cmp_ne_u32_e64 s4, 4, v58
	v_lshlrev_b16 v73, 8, v73
	v_cndmask_b32_e64 v75, 11, v20, s4
	v_cmp_ne_u32_e64 s4, 6, v58
	v_cndmask_b32_e64 v74, 11, v74, s4
	v_cmp_ne_u32_e64 s4, 14, v58
	v_or_b32_sdwa v70, v74, v73 dst_sel:WORD_1 dst_unused:UNUSED_PAD src0_sel:BYTE_0 src1_sel:DWORD
	v_cndmask_b32_e64 v58, 11, v68, s4
	v_cmp_ne_u32_e64 s4, 1, v56
	v_or_b32_sdwa v68, v75, v72 dst_sel:DWORD dst_unused:UNUSED_PAD src0_sel:BYTE_0 src1_sel:DWORD
	v_mov_b32_e32 v74, 3
	v_or_b32_sdwa v58, v58, v64 dst_sel:WORD_1 dst_unused:UNUSED_PAD src0_sel:BYTE_0 src1_sel:DWORD
	v_or_b32_sdwa v64, v66, v67 dst_sel:DWORD dst_unused:UNUSED_PAD src0_sel:WORD_0 src1_sel:DWORD
	v_or_b32_sdwa v62, v68, v70 dst_sel:DWORD dst_unused:UNUSED_PAD src0_sel:WORD_0 src1_sel:DWORD
	;; [unrolled: 1-line block ×4, first 2 shown]
	v_lshrrev_b32_e32 v60, 8, v19
	v_cndmask_b32_e32 v20, v62, v20, vcc_lo
	v_cndmask_b32_e32 v21, v64, v21, vcc_lo
	;; [unrolled: 1-line block ×3, first 2 shown]
	v_lshrrev_b32_e32 v40, 24, v19
	v_cndmask_b32_e64 v59, 12, v60, s4
	v_cmp_ne_u32_e64 s4, 3, v56
	v_lshrrev_b32_e32 v60, 16, v19
	v_cndmask_b32_e32 v23, v58, v23, vcc_lo
	v_lshrrev_b32_e32 v58, 8, v25
	v_lshlrev_b16 v59, 8, v59
	v_cndmask_b32_e64 v40, 12, v40, s4
	v_cmp_ne_u32_e64 s4, 0, v56
	v_cmp_ne_u32_e32 vcc_lo, 21, v56
	v_lshrrev_b32_e32 v62, 16, v25
	v_lshrrev_b32_e32 v63, 8, v23
	v_lshlrev_b16 v40, 8, v40
	v_cndmask_b32_e64 v61, 12, v19, s4
	v_cmp_ne_u32_e64 s4, 2, v56
	v_cndmask_b32_e32 v58, 12, v58, vcc_lo
	v_cmp_ne_u32_e32 vcc_lo, 23, v56
	v_lshrrev_b32_e32 v64, 8, v21
	v_or_b32_sdwa v59, v61, v59 dst_sel:DWORD dst_unused:UNUSED_PAD src0_sel:BYTE_0 src1_sel:DWORD
	v_cndmask_b32_e64 v60, 12, v60, s4
	v_lshrrev_b32_e32 v61, 24, v25
	v_lshlrev_b16 v58, 8, v58
	v_cmp_ne_u32_e64 s4, 18, v56
	v_lshrrev_b32_e32 v65, 24, v21
	v_or_b32_sdwa v40, v60, v40 dst_sel:WORD_1 dst_unused:UNUSED_PAD src0_sel:BYTE_0 src1_sel:DWORD
	v_cndmask_b32_e32 v60, 12, v61, vcc_lo
	v_cmp_ne_u32_e32 vcc_lo, 20, v56
	v_lshrrev_b32_e32 v68, 16, v21
	v_lshrrev_b32_e32 v70, 8, v20
	v_or_b32_sdwa v40, v59, v40 dst_sel:DWORD dst_unused:UNUSED_PAD src0_sel:WORD_0 src1_sel:DWORD
	v_lshlrev_b16 v60, 8, v60
	v_cndmask_b32_e32 v61, 12, v25, vcc_lo
	v_cmp_ne_u32_e32 vcc_lo, 22, v56
	v_lshrrev_b32_e32 v71, 24, v20
	v_lshrrev_b32_e32 v72, 16, v20
	;; [unrolled: 1-line block ×3, first 2 shown]
	v_or_b32_sdwa v58, v61, v58 dst_sel:DWORD dst_unused:UNUSED_PAD src0_sel:BYTE_0 src1_sel:DWORD
	v_cndmask_b32_e32 v62, 12, v62, vcc_lo
	v_cmp_ne_u32_e32 vcc_lo, 17, v56
	v_lshrrev_b32_e32 v61, 24, v23
	v_or_b32_sdwa v60, v62, v60 dst_sel:WORD_1 dst_unused:UNUSED_PAD src0_sel:BYTE_0 src1_sel:DWORD
	v_cndmask_b32_e32 v59, 12, v63, vcc_lo
	v_cmp_ne_u32_e32 vcc_lo, 16, v56
	v_lshlrev_b16 v59, 8, v59
	v_cndmask_b32_e32 v62, 12, v23, vcc_lo
	v_cmp_ne_u32_e32 vcc_lo, 19, v56
	v_cndmask_b32_e32 v61, 12, v61, vcc_lo
	v_cmp_eq_u32_e32 vcc_lo, 0, v57
	v_or_b32_sdwa v57, v58, v60 dst_sel:DWORD dst_unused:UNUSED_PAD src0_sel:WORD_0 src1_sel:DWORD
	v_or_b32_sdwa v58, v62, v59 dst_sel:DWORD dst_unused:UNUSED_PAD src0_sel:BYTE_0 src1_sel:DWORD
	v_lshrrev_b32_e32 v59, 16, v23
	v_lshlrev_b16 v60, 8, v61
	v_lshrrev_b32_e32 v61, 8, v22
	v_lshrrev_b32_e32 v62, 24, v22
	v_cndmask_b32_e32 v19, v40, v19, vcc_lo
	v_cndmask_b32_e64 v59, 12, v59, s4
	v_cmp_ne_u32_e64 s4, 13, v56
	v_cndmask_b32_e32 v25, v57, v25, vcc_lo
	v_or_b32_sdwa v59, v59, v60 dst_sel:WORD_1 dst_unused:UNUSED_PAD src0_sel:BYTE_0 src1_sel:DWORD
	v_cndmask_b32_e64 v61, 12, v61, s4
	v_cmp_ne_u32_e64 s4, 15, v56
	v_lshlrev_b16 v61, 8, v61
	v_cndmask_b32_e64 v62, 12, v62, s4
	v_cmp_ne_u32_e64 s4, 12, v56
	v_lshlrev_b16 v62, 8, v62
	v_cndmask_b32_e64 v63, 12, v22, s4
	v_cmp_ne_u32_e64 s4, 9, v56
	v_or_b32_sdwa v61, v63, v61 dst_sel:DWORD dst_unused:UNUSED_PAD src0_sel:BYTE_0 src1_sel:DWORD
	v_cndmask_b32_e64 v64, 12, v64, s4
	v_cmp_ne_u32_e64 s4, 11, v56
	v_lshlrev_b16 v64, 8, v64
	v_cndmask_b32_e64 v65, 12, v65, s4
	v_cmp_ne_u32_e64 s4, 8, v56
	v_lshlrev_b16 v65, 8, v65
	v_cndmask_b32_e64 v67, 12, v21, s4
	v_cmp_ne_u32_e64 s4, 10, v56
	v_or_b32_sdwa v64, v67, v64 dst_sel:DWORD dst_unused:UNUSED_PAD src0_sel:BYTE_0 src1_sel:DWORD
	v_cndmask_b32_e64 v68, 12, v68, s4
	v_cmp_ne_u32_e64 s4, 5, v56
	v_or_b32_sdwa v65, v68, v65 dst_sel:WORD_1 dst_unused:UNUSED_PAD src0_sel:BYTE_0 src1_sel:DWORD
	v_cndmask_b32_e64 v70, 12, v70, s4
	v_cmp_ne_u32_e64 s4, 7, v56
	v_lshlrev_b16 v70, 8, v70
	v_cndmask_b32_e64 v71, 12, v71, s4
	v_cmp_ne_u32_e64 s4, 4, v56
	v_lshlrev_b16 v71, 8, v71
	v_cndmask_b32_e64 v73, 12, v20, s4
	v_cmp_ne_u32_e64 s4, 6, v56
	v_cndmask_b32_e64 v72, 12, v72, s4
	v_cmp_ne_u32_e64 s4, 14, v56
	v_or_b32_sdwa v67, v72, v71 dst_sel:WORD_1 dst_unused:UNUSED_PAD src0_sel:BYTE_0 src1_sel:DWORD
	v_cndmask_b32_e64 v56, 12, v66, s4
	v_cmp_ne_u32_e64 s4, 1, v54
	v_or_b32_sdwa v66, v73, v70 dst_sel:DWORD dst_unused:UNUSED_PAD src0_sel:BYTE_0 src1_sel:DWORD
	v_or_b32_sdwa v56, v56, v62 dst_sel:WORD_1 dst_unused:UNUSED_PAD src0_sel:BYTE_0 src1_sel:DWORD
	v_or_b32_sdwa v62, v64, v65 dst_sel:DWORD dst_unused:UNUSED_PAD src0_sel:WORD_0 src1_sel:DWORD
	v_or_b32_sdwa v60, v66, v67 dst_sel:DWORD dst_unused:UNUSED_PAD src0_sel:WORD_0 src1_sel:DWORD
	;; [unrolled: 1-line block ×4, first 2 shown]
	v_lshrrev_b32_e32 v58, 8, v19
	v_cndmask_b32_e32 v20, v60, v20, vcc_lo
	v_cndmask_b32_e32 v21, v62, v21, vcc_lo
	v_cndmask_b32_e32 v22, v40, v22, vcc_lo
	v_lshrrev_b32_e32 v40, 24, v19
	v_cndmask_b32_e64 v57, 13, v58, s4
	v_cmp_ne_u32_e64 s4, 3, v54
	v_lshrrev_b32_e32 v58, 16, v19
	v_cndmask_b32_e32 v23, v56, v23, vcc_lo
	v_lshrrev_b32_e32 v56, 8, v25
	v_lshlrev_b16 v57, 8, v57
	v_cndmask_b32_e64 v40, 13, v40, s4
	v_cmp_ne_u32_e64 s4, 0, v54
	v_cmp_ne_u32_e32 vcc_lo, 21, v54
	v_lshrrev_b32_e32 v60, 16, v25
	v_lshrrev_b32_e32 v61, 8, v23
	v_lshlrev_b16 v40, 8, v40
	v_cndmask_b32_e64 v59, 13, v19, s4
	v_cmp_ne_u32_e64 s4, 2, v54
	v_cndmask_b32_e32 v56, 13, v56, vcc_lo
	v_cmp_ne_u32_e32 vcc_lo, 23, v54
	v_lshrrev_b32_e32 v62, 8, v21
	v_or_b32_sdwa v57, v59, v57 dst_sel:DWORD dst_unused:UNUSED_PAD src0_sel:BYTE_0 src1_sel:DWORD
	v_cndmask_b32_e64 v58, 13, v58, s4
	v_lshrrev_b32_e32 v59, 24, v25
	v_lshlrev_b16 v56, 8, v56
	v_cmp_ne_u32_e64 s4, 18, v54
	v_lshrrev_b32_e32 v63, 24, v21
	v_or_b32_sdwa v40, v58, v40 dst_sel:WORD_1 dst_unused:UNUSED_PAD src0_sel:BYTE_0 src1_sel:DWORD
	v_cndmask_b32_e32 v58, 13, v59, vcc_lo
	v_cmp_ne_u32_e32 vcc_lo, 20, v54
	v_lshrrev_b32_e32 v66, 16, v21
	v_lshrrev_b32_e32 v67, 8, v20
	v_or_b32_sdwa v40, v57, v40 dst_sel:DWORD dst_unused:UNUSED_PAD src0_sel:WORD_0 src1_sel:DWORD
	v_lshlrev_b16 v58, 8, v58
	v_cndmask_b32_e32 v59, 13, v25, vcc_lo
	v_cmp_ne_u32_e32 vcc_lo, 22, v54
	v_lshrrev_b32_e32 v68, 24, v20
	v_lshrrev_b32_e32 v70, 16, v20
	;; [unrolled: 1-line block ×3, first 2 shown]
	v_or_b32_sdwa v56, v59, v56 dst_sel:DWORD dst_unused:UNUSED_PAD src0_sel:BYTE_0 src1_sel:DWORD
	v_cndmask_b32_e32 v60, 13, v60, vcc_lo
	v_cmp_ne_u32_e32 vcc_lo, 17, v54
	v_lshrrev_b32_e32 v59, 24, v23
	v_or_b32_sdwa v58, v60, v58 dst_sel:WORD_1 dst_unused:UNUSED_PAD src0_sel:BYTE_0 src1_sel:DWORD
	v_cndmask_b32_e32 v57, 13, v61, vcc_lo
	v_cmp_ne_u32_e32 vcc_lo, 16, v54
	v_lshlrev_b16 v57, 8, v57
	v_cndmask_b32_e32 v60, 13, v23, vcc_lo
	v_cmp_ne_u32_e32 vcc_lo, 19, v54
	v_cndmask_b32_e32 v59, 13, v59, vcc_lo
	v_cmp_eq_u32_e32 vcc_lo, 0, v55
	v_or_b32_sdwa v55, v56, v58 dst_sel:DWORD dst_unused:UNUSED_PAD src0_sel:WORD_0 src1_sel:DWORD
	v_or_b32_sdwa v56, v60, v57 dst_sel:DWORD dst_unused:UNUSED_PAD src0_sel:BYTE_0 src1_sel:DWORD
	v_lshrrev_b32_e32 v57, 16, v23
	v_lshlrev_b16 v58, 8, v59
	v_lshrrev_b32_e32 v59, 8, v22
	v_lshrrev_b32_e32 v60, 24, v22
	v_cndmask_b32_e32 v19, v40, v19, vcc_lo
	v_cndmask_b32_e64 v57, 13, v57, s4
	v_cmp_ne_u32_e64 s4, 13, v54
	v_cndmask_b32_e32 v25, v55, v25, vcc_lo
	v_or_b32_sdwa v57, v57, v58 dst_sel:WORD_1 dst_unused:UNUSED_PAD src0_sel:BYTE_0 src1_sel:DWORD
	v_cndmask_b32_e64 v59, 13, v59, s4
	v_cmp_ne_u32_e64 s4, 15, v54
	v_lshlrev_b16 v59, 8, v59
	v_cndmask_b32_e64 v60, 13, v60, s4
	v_cmp_ne_u32_e64 s4, 12, v54
	v_lshlrev_b16 v60, 8, v60
	v_cndmask_b32_e64 v61, 13, v22, s4
	v_cmp_ne_u32_e64 s4, 9, v54
	v_or_b32_sdwa v59, v61, v59 dst_sel:DWORD dst_unused:UNUSED_PAD src0_sel:BYTE_0 src1_sel:DWORD
	v_cndmask_b32_e64 v62, 13, v62, s4
	v_cmp_ne_u32_e64 s4, 11, v54
	v_lshlrev_b16 v62, 8, v62
	v_cndmask_b32_e64 v63, 13, v63, s4
	v_cmp_ne_u32_e64 s4, 8, v54
	v_lshlrev_b16 v63, 8, v63
	v_cndmask_b32_e64 v65, 13, v21, s4
	v_cmp_ne_u32_e64 s4, 10, v54
	v_or_b32_sdwa v62, v65, v62 dst_sel:DWORD dst_unused:UNUSED_PAD src0_sel:BYTE_0 src1_sel:DWORD
	v_cndmask_b32_e64 v66, 13, v66, s4
	v_cmp_ne_u32_e64 s4, 5, v54
	v_or_b32_sdwa v63, v66, v63 dst_sel:WORD_1 dst_unused:UNUSED_PAD src0_sel:BYTE_0 src1_sel:DWORD
	v_cndmask_b32_e64 v67, 13, v67, s4
	v_cmp_ne_u32_e64 s4, 7, v54
	v_lshlrev_b16 v67, 8, v67
	v_cndmask_b32_e64 v68, 13, v68, s4
	v_cmp_ne_u32_e64 s4, 4, v54
	v_lshlrev_b16 v68, 8, v68
	v_cndmask_b32_e64 v71, 13, v20, s4
	v_cmp_ne_u32_e64 s4, 6, v54
	v_cndmask_b32_e64 v70, 13, v70, s4
	v_cmp_ne_u32_e64 s4, 14, v54
	v_or_b32_sdwa v65, v70, v68 dst_sel:WORD_1 dst_unused:UNUSED_PAD src0_sel:BYTE_0 src1_sel:DWORD
	v_cndmask_b32_e64 v54, 13, v64, s4
	v_cmp_ne_u32_e64 s4, 1, v52
	v_or_b32_sdwa v64, v71, v67 dst_sel:DWORD dst_unused:UNUSED_PAD src0_sel:BYTE_0 src1_sel:DWORD
	v_or_b32_sdwa v54, v54, v60 dst_sel:WORD_1 dst_unused:UNUSED_PAD src0_sel:BYTE_0 src1_sel:DWORD
	v_or_b32_sdwa v60, v62, v63 dst_sel:DWORD dst_unused:UNUSED_PAD src0_sel:WORD_0 src1_sel:DWORD
	v_or_b32_sdwa v58, v64, v65 dst_sel:DWORD dst_unused:UNUSED_PAD src0_sel:WORD_0 src1_sel:DWORD
	;; [unrolled: 1-line block ×4, first 2 shown]
	v_lshrrev_b32_e32 v56, 8, v19
	v_cndmask_b32_e32 v20, v58, v20, vcc_lo
	v_cndmask_b32_e32 v21, v60, v21, vcc_lo
	v_cndmask_b32_e32 v22, v40, v22, vcc_lo
	v_lshrrev_b32_e32 v40, 24, v19
	v_cndmask_b32_e64 v55, 14, v56, s4
	v_cmp_ne_u32_e64 s4, 3, v52
	v_lshrrev_b32_e32 v56, 16, v19
	v_cndmask_b32_e32 v23, v54, v23, vcc_lo
	v_lshrrev_b32_e32 v54, 8, v25
	v_lshlrev_b16 v55, 8, v55
	v_cndmask_b32_e64 v40, 14, v40, s4
	v_cmp_ne_u32_e64 s4, 0, v52
	v_cmp_ne_u32_e32 vcc_lo, 21, v52
	v_lshrrev_b32_e32 v58, 16, v25
	v_lshrrev_b32_e32 v59, 8, v23
	v_lshlrev_b16 v40, 8, v40
	v_cndmask_b32_e64 v57, 14, v19, s4
	v_cmp_ne_u32_e64 s4, 2, v52
	v_cndmask_b32_e32 v54, 14, v54, vcc_lo
	v_cmp_ne_u32_e32 vcc_lo, 23, v52
	v_lshrrev_b32_e32 v60, 8, v21
	v_or_b32_sdwa v55, v57, v55 dst_sel:DWORD dst_unused:UNUSED_PAD src0_sel:BYTE_0 src1_sel:DWORD
	v_cndmask_b32_e64 v56, 14, v56, s4
	v_lshrrev_b32_e32 v57, 24, v25
	v_lshlrev_b16 v54, 8, v54
	v_cmp_ne_u32_e64 s4, 18, v52
	v_lshrrev_b32_e32 v61, 24, v21
	v_or_b32_sdwa v40, v56, v40 dst_sel:WORD_1 dst_unused:UNUSED_PAD src0_sel:BYTE_0 src1_sel:DWORD
	v_cndmask_b32_e32 v56, 14, v57, vcc_lo
	v_cmp_ne_u32_e32 vcc_lo, 20, v52
	v_lshrrev_b32_e32 v64, 16, v21
	v_lshrrev_b32_e32 v65, 8, v20
	v_or_b32_sdwa v40, v55, v40 dst_sel:DWORD dst_unused:UNUSED_PAD src0_sel:WORD_0 src1_sel:DWORD
	v_lshlrev_b16 v56, 8, v56
	v_cndmask_b32_e32 v57, 14, v25, vcc_lo
	v_cmp_ne_u32_e32 vcc_lo, 22, v52
	v_lshrrev_b32_e32 v66, 24, v20
	v_lshrrev_b32_e32 v67, 16, v20
	;; [unrolled: 1-line block ×3, first 2 shown]
	v_or_b32_sdwa v54, v57, v54 dst_sel:DWORD dst_unused:UNUSED_PAD src0_sel:BYTE_0 src1_sel:DWORD
	v_cndmask_b32_e32 v58, 14, v58, vcc_lo
	v_cmp_ne_u32_e32 vcc_lo, 17, v52
	v_lshrrev_b32_e32 v57, 24, v23
	v_or_b32_sdwa v56, v58, v56 dst_sel:WORD_1 dst_unused:UNUSED_PAD src0_sel:BYTE_0 src1_sel:DWORD
	v_cndmask_b32_e32 v55, 14, v59, vcc_lo
	v_cmp_ne_u32_e32 vcc_lo, 16, v52
	v_lshlrev_b16 v55, 8, v55
	v_cndmask_b32_e32 v58, 14, v23, vcc_lo
	v_cmp_ne_u32_e32 vcc_lo, 19, v52
	v_cndmask_b32_e32 v57, 14, v57, vcc_lo
	v_cmp_eq_u32_e32 vcc_lo, 0, v53
	v_or_b32_sdwa v53, v54, v56 dst_sel:DWORD dst_unused:UNUSED_PAD src0_sel:WORD_0 src1_sel:DWORD
	v_or_b32_sdwa v54, v58, v55 dst_sel:DWORD dst_unused:UNUSED_PAD src0_sel:BYTE_0 src1_sel:DWORD
	v_lshrrev_b32_e32 v55, 16, v23
	v_lshlrev_b16 v56, 8, v57
	v_lshrrev_b32_e32 v57, 8, v22
	v_lshrrev_b32_e32 v58, 24, v22
	v_cndmask_b32_e32 v19, v40, v19, vcc_lo
	v_cndmask_b32_e64 v55, 14, v55, s4
	v_cmp_ne_u32_e64 s4, 13, v52
	v_cndmask_b32_e32 v25, v53, v25, vcc_lo
	v_or_b32_sdwa v55, v55, v56 dst_sel:WORD_1 dst_unused:UNUSED_PAD src0_sel:BYTE_0 src1_sel:DWORD
	v_cndmask_b32_e64 v57, 14, v57, s4
	v_cmp_ne_u32_e64 s4, 15, v52
	v_lshlrev_b16 v57, 8, v57
	v_cndmask_b32_e64 v58, 14, v58, s4
	v_cmp_ne_u32_e64 s4, 12, v52
	v_lshlrev_b16 v58, 8, v58
	v_cndmask_b32_e64 v59, 14, v22, s4
	v_cmp_ne_u32_e64 s4, 9, v52
	v_or_b32_sdwa v57, v59, v57 dst_sel:DWORD dst_unused:UNUSED_PAD src0_sel:BYTE_0 src1_sel:DWORD
	v_cndmask_b32_e64 v60, 14, v60, s4
	v_cmp_ne_u32_e64 s4, 11, v52
	v_lshlrev_b16 v60, 8, v60
	v_cndmask_b32_e64 v61, 14, v61, s4
	v_cmp_ne_u32_e64 s4, 8, v52
	v_lshlrev_b16 v61, 8, v61
	v_cndmask_b32_e64 v63, 14, v21, s4
	v_cmp_ne_u32_e64 s4, 10, v52
	v_or_b32_sdwa v60, v63, v60 dst_sel:DWORD dst_unused:UNUSED_PAD src0_sel:BYTE_0 src1_sel:DWORD
	v_cndmask_b32_e64 v64, 14, v64, s4
	v_cmp_ne_u32_e64 s4, 5, v52
	v_or_b32_sdwa v61, v64, v61 dst_sel:WORD_1 dst_unused:UNUSED_PAD src0_sel:BYTE_0 src1_sel:DWORD
	v_cndmask_b32_e64 v65, 14, v65, s4
	v_cmp_ne_u32_e64 s4, 7, v52
	v_lshlrev_b16 v65, 8, v65
	v_cndmask_b32_e64 v66, 14, v66, s4
	v_cmp_ne_u32_e64 s4, 4, v52
	v_lshlrev_b16 v66, 8, v66
	v_cndmask_b32_e64 v68, 14, v20, s4
	v_cmp_ne_u32_e64 s4, 6, v52
	v_cndmask_b32_e64 v67, 14, v67, s4
	v_cmp_ne_u32_e64 s4, 14, v52
	v_or_b32_sdwa v63, v67, v66 dst_sel:WORD_1 dst_unused:UNUSED_PAD src0_sel:BYTE_0 src1_sel:DWORD
	v_cndmask_b32_e64 v52, 14, v62, s4
	v_cmp_ne_u32_e64 s4, 1, v50
	v_or_b32_sdwa v62, v68, v65 dst_sel:DWORD dst_unused:UNUSED_PAD src0_sel:BYTE_0 src1_sel:DWORD
	v_or_b32_sdwa v52, v52, v58 dst_sel:WORD_1 dst_unused:UNUSED_PAD src0_sel:BYTE_0 src1_sel:DWORD
	v_or_b32_sdwa v58, v60, v61 dst_sel:DWORD dst_unused:UNUSED_PAD src0_sel:WORD_0 src1_sel:DWORD
	v_or_b32_sdwa v56, v62, v63 dst_sel:DWORD dst_unused:UNUSED_PAD src0_sel:WORD_0 src1_sel:DWORD
	;; [unrolled: 1-line block ×4, first 2 shown]
	v_lshrrev_b32_e32 v54, 8, v19
	v_cndmask_b32_e32 v20, v56, v20, vcc_lo
	v_cndmask_b32_e32 v21, v58, v21, vcc_lo
	;; [unrolled: 1-line block ×3, first 2 shown]
	v_lshrrev_b32_e32 v40, 24, v19
	v_cndmask_b32_e64 v53, 15, v54, s4
	v_cmp_ne_u32_e64 s4, 3, v50
	v_lshrrev_b32_e32 v54, 16, v19
	v_cndmask_b32_e32 v23, v52, v23, vcc_lo
	v_lshrrev_b32_e32 v52, 8, v25
	v_lshlrev_b16 v53, 8, v53
	v_cndmask_b32_e64 v40, 15, v40, s4
	v_cmp_ne_u32_e64 s4, 0, v50
	v_cmp_ne_u32_e32 vcc_lo, 21, v50
	v_lshrrev_b32_e32 v56, 16, v25
	v_lshrrev_b32_e32 v57, 8, v23
	v_lshlrev_b16 v40, 8, v40
	v_cndmask_b32_e64 v55, 15, v19, s4
	v_cmp_ne_u32_e64 s4, 2, v50
	v_cndmask_b32_e32 v52, 15, v52, vcc_lo
	v_cmp_ne_u32_e32 vcc_lo, 23, v50
	v_lshrrev_b32_e32 v58, 8, v21
	v_or_b32_sdwa v53, v55, v53 dst_sel:DWORD dst_unused:UNUSED_PAD src0_sel:BYTE_0 src1_sel:DWORD
	v_cndmask_b32_e64 v54, 15, v54, s4
	v_lshrrev_b32_e32 v55, 24, v25
	v_lshlrev_b16 v52, 8, v52
	v_cmp_ne_u32_e64 s4, 18, v50
	v_lshrrev_b32_e32 v59, 24, v21
	v_or_b32_sdwa v40, v54, v40 dst_sel:WORD_1 dst_unused:UNUSED_PAD src0_sel:BYTE_0 src1_sel:DWORD
	v_cndmask_b32_e32 v54, 15, v55, vcc_lo
	v_cmp_ne_u32_e32 vcc_lo, 20, v50
	v_lshrrev_b32_e32 v62, 16, v21
	v_lshrrev_b32_e32 v63, 8, v20
	v_or_b32_sdwa v40, v53, v40 dst_sel:DWORD dst_unused:UNUSED_PAD src0_sel:WORD_0 src1_sel:DWORD
	v_lshlrev_b16 v54, 8, v54
	v_cndmask_b32_e32 v55, 15, v25, vcc_lo
	v_cmp_ne_u32_e32 vcc_lo, 22, v50
	v_lshrrev_b32_e32 v64, 24, v20
	v_lshrrev_b32_e32 v65, 16, v20
	;; [unrolled: 1-line block ×3, first 2 shown]
	v_or_b32_sdwa v52, v55, v52 dst_sel:DWORD dst_unused:UNUSED_PAD src0_sel:BYTE_0 src1_sel:DWORD
	v_cndmask_b32_e32 v56, 15, v56, vcc_lo
	v_cmp_ne_u32_e32 vcc_lo, 17, v50
	v_lshrrev_b32_e32 v55, 24, v23
	v_or_b32_sdwa v54, v56, v54 dst_sel:WORD_1 dst_unused:UNUSED_PAD src0_sel:BYTE_0 src1_sel:DWORD
	v_cndmask_b32_e32 v53, 15, v57, vcc_lo
	v_cmp_ne_u32_e32 vcc_lo, 16, v50
	v_lshlrev_b16 v53, 8, v53
	v_cndmask_b32_e32 v56, 15, v23, vcc_lo
	v_cmp_ne_u32_e32 vcc_lo, 19, v50
	v_cndmask_b32_e32 v55, 15, v55, vcc_lo
	v_cmp_eq_u32_e32 vcc_lo, 0, v51
	v_or_b32_sdwa v51, v52, v54 dst_sel:DWORD dst_unused:UNUSED_PAD src0_sel:WORD_0 src1_sel:DWORD
	v_or_b32_sdwa v52, v56, v53 dst_sel:DWORD dst_unused:UNUSED_PAD src0_sel:BYTE_0 src1_sel:DWORD
	v_lshrrev_b32_e32 v53, 16, v23
	v_lshlrev_b16 v54, 8, v55
	v_lshrrev_b32_e32 v55, 8, v22
	v_lshrrev_b32_e32 v56, 24, v22
	v_cndmask_b32_e32 v19, v40, v19, vcc_lo
	v_cndmask_b32_e64 v53, 15, v53, s4
	v_cmp_ne_u32_e64 s4, 13, v50
	v_cndmask_b32_e32 v25, v51, v25, vcc_lo
	v_or_b32_sdwa v53, v53, v54 dst_sel:WORD_1 dst_unused:UNUSED_PAD src0_sel:BYTE_0 src1_sel:DWORD
	v_cndmask_b32_e64 v55, 15, v55, s4
	v_cmp_ne_u32_e64 s4, 15, v50
	v_lshlrev_b16 v55, 8, v55
	v_cndmask_b32_e64 v56, 15, v56, s4
	v_cmp_ne_u32_e64 s4, 12, v50
	v_lshlrev_b16 v56, 8, v56
	v_cndmask_b32_e64 v57, 15, v22, s4
	v_cmp_ne_u32_e64 s4, 9, v50
	v_or_b32_sdwa v55, v57, v55 dst_sel:DWORD dst_unused:UNUSED_PAD src0_sel:BYTE_0 src1_sel:DWORD
	v_cndmask_b32_e64 v58, 15, v58, s4
	v_cmp_ne_u32_e64 s4, 11, v50
	v_lshlrev_b16 v58, 8, v58
	v_cndmask_b32_e64 v59, 15, v59, s4
	v_cmp_ne_u32_e64 s4, 8, v50
	v_lshlrev_b16 v59, 8, v59
	v_cndmask_b32_e64 v61, 15, v21, s4
	v_cmp_ne_u32_e64 s4, 10, v50
	v_or_b32_sdwa v58, v61, v58 dst_sel:DWORD dst_unused:UNUSED_PAD src0_sel:BYTE_0 src1_sel:DWORD
	v_cndmask_b32_e64 v62, 15, v62, s4
	v_cmp_ne_u32_e64 s4, 5, v50
	v_or_b32_sdwa v59, v62, v59 dst_sel:WORD_1 dst_unused:UNUSED_PAD src0_sel:BYTE_0 src1_sel:DWORD
	v_cndmask_b32_e64 v63, 15, v63, s4
	v_cmp_ne_u32_e64 s4, 7, v50
	v_lshlrev_b16 v63, 8, v63
	v_cndmask_b32_e64 v64, 15, v64, s4
	v_cmp_ne_u32_e64 s4, 4, v50
	v_lshlrev_b16 v64, 8, v64
	v_cndmask_b32_e64 v66, 15, v20, s4
	v_cmp_ne_u32_e64 s4, 6, v50
	v_cndmask_b32_e64 v65, 15, v65, s4
	v_cmp_ne_u32_e64 s4, 14, v50
	v_or_b32_sdwa v61, v65, v64 dst_sel:WORD_1 dst_unused:UNUSED_PAD src0_sel:BYTE_0 src1_sel:DWORD
	v_cndmask_b32_e64 v50, 15, v60, s4
	v_cmp_ne_u32_e64 s4, 1, v48
	v_or_b32_sdwa v60, v66, v63 dst_sel:DWORD dst_unused:UNUSED_PAD src0_sel:BYTE_0 src1_sel:DWORD
	v_or_b32_sdwa v50, v50, v56 dst_sel:WORD_1 dst_unused:UNUSED_PAD src0_sel:BYTE_0 src1_sel:DWORD
	v_or_b32_sdwa v56, v58, v59 dst_sel:DWORD dst_unused:UNUSED_PAD src0_sel:WORD_0 src1_sel:DWORD
	v_or_b32_sdwa v54, v60, v61 dst_sel:DWORD dst_unused:UNUSED_PAD src0_sel:WORD_0 src1_sel:DWORD
	;; [unrolled: 1-line block ×4, first 2 shown]
	v_lshrrev_b32_e32 v52, 8, v19
	v_cndmask_b32_e32 v20, v54, v20, vcc_lo
	v_cndmask_b32_e32 v21, v56, v21, vcc_lo
	;; [unrolled: 1-line block ×3, first 2 shown]
	v_lshrrev_b32_e32 v40, 24, v19
	v_cndmask_b32_e64 v51, 16, v52, s4
	v_cmp_ne_u32_e64 s4, 3, v48
	v_lshrrev_b32_e32 v52, 16, v19
	v_cndmask_b32_e32 v23, v50, v23, vcc_lo
	v_lshrrev_b32_e32 v50, 8, v25
	v_lshlrev_b16 v51, 8, v51
	v_cndmask_b32_e64 v40, 16, v40, s4
	v_cmp_ne_u32_e64 s4, 0, v48
	v_cmp_ne_u32_e32 vcc_lo, 21, v48
	v_lshrrev_b32_e32 v54, 16, v25
	v_lshrrev_b32_e32 v55, 8, v23
	v_lshlrev_b16 v40, 8, v40
	v_cndmask_b32_e64 v53, 16, v19, s4
	v_cmp_ne_u32_e64 s4, 2, v48
	v_cndmask_b32_e32 v50, 16, v50, vcc_lo
	v_cmp_ne_u32_e32 vcc_lo, 23, v48
	v_lshrrev_b32_e32 v56, 8, v21
	v_or_b32_sdwa v51, v53, v51 dst_sel:DWORD dst_unused:UNUSED_PAD src0_sel:BYTE_0 src1_sel:DWORD
	v_cndmask_b32_e64 v52, 16, v52, s4
	v_lshrrev_b32_e32 v53, 24, v25
	v_lshlrev_b16 v50, 8, v50
	v_cmp_ne_u32_e64 s4, 18, v48
	v_lshrrev_b32_e32 v57, 24, v21
	v_or_b32_sdwa v40, v52, v40 dst_sel:WORD_1 dst_unused:UNUSED_PAD src0_sel:BYTE_0 src1_sel:DWORD
	v_cndmask_b32_e32 v52, 16, v53, vcc_lo
	v_cmp_ne_u32_e32 vcc_lo, 20, v48
	v_lshrrev_b32_e32 v60, 16, v21
	v_lshrrev_b32_e32 v61, 8, v20
	v_or_b32_sdwa v40, v51, v40 dst_sel:DWORD dst_unused:UNUSED_PAD src0_sel:WORD_0 src1_sel:DWORD
	v_lshlrev_b16 v52, 8, v52
	v_cndmask_b32_e32 v53, 16, v25, vcc_lo
	v_cmp_ne_u32_e32 vcc_lo, 22, v48
	v_lshrrev_b32_e32 v62, 24, v20
	v_lshrrev_b32_e32 v63, 16, v20
	v_lshrrev_b32_e32 v58, 16, v22
	v_or_b32_sdwa v50, v53, v50 dst_sel:DWORD dst_unused:UNUSED_PAD src0_sel:BYTE_0 src1_sel:DWORD
	v_cndmask_b32_e32 v54, 16, v54, vcc_lo
	v_cmp_ne_u32_e32 vcc_lo, 17, v48
	v_lshrrev_b32_e32 v53, 24, v23
	v_or_b32_sdwa v52, v54, v52 dst_sel:WORD_1 dst_unused:UNUSED_PAD src0_sel:BYTE_0 src1_sel:DWORD
	v_cndmask_b32_e32 v51, 16, v55, vcc_lo
	v_cmp_ne_u32_e32 vcc_lo, 16, v48
	v_lshlrev_b16 v51, 8, v51
	v_cndmask_b32_e32 v54, 16, v23, vcc_lo
	v_cmp_ne_u32_e32 vcc_lo, 19, v48
	v_cndmask_b32_e32 v53, 16, v53, vcc_lo
	v_cmp_eq_u32_e32 vcc_lo, 0, v49
	v_or_b32_sdwa v49, v50, v52 dst_sel:DWORD dst_unused:UNUSED_PAD src0_sel:WORD_0 src1_sel:DWORD
	v_or_b32_sdwa v50, v54, v51 dst_sel:DWORD dst_unused:UNUSED_PAD src0_sel:BYTE_0 src1_sel:DWORD
	v_lshrrev_b32_e32 v51, 16, v23
	v_lshlrev_b16 v52, 8, v53
	v_lshrrev_b32_e32 v53, 8, v22
	v_lshrrev_b32_e32 v54, 24, v22
	v_cndmask_b32_e32 v19, v40, v19, vcc_lo
	v_cndmask_b32_e64 v51, 16, v51, s4
	v_cmp_ne_u32_e64 s4, 13, v48
	v_cndmask_b32_e32 v25, v49, v25, vcc_lo
	v_or_b32_sdwa v51, v51, v52 dst_sel:WORD_1 dst_unused:UNUSED_PAD src0_sel:BYTE_0 src1_sel:DWORD
	v_cndmask_b32_e64 v53, 16, v53, s4
	v_cmp_ne_u32_e64 s4, 15, v48
	v_lshlrev_b16 v53, 8, v53
	v_cndmask_b32_e64 v54, 16, v54, s4
	v_cmp_ne_u32_e64 s4, 12, v48
	v_lshlrev_b16 v54, 8, v54
	v_cndmask_b32_e64 v55, 16, v22, s4
	v_cmp_ne_u32_e64 s4, 9, v48
	v_or_b32_sdwa v53, v55, v53 dst_sel:DWORD dst_unused:UNUSED_PAD src0_sel:BYTE_0 src1_sel:DWORD
	v_cndmask_b32_e64 v56, 16, v56, s4
	v_cmp_ne_u32_e64 s4, 11, v48
	v_lshlrev_b16 v56, 8, v56
	v_cndmask_b32_e64 v57, 16, v57, s4
	v_cmp_ne_u32_e64 s4, 8, v48
	v_lshlrev_b16 v57, 8, v57
	v_cndmask_b32_e64 v59, 16, v21, s4
	v_cmp_ne_u32_e64 s4, 10, v48
	v_or_b32_sdwa v56, v59, v56 dst_sel:DWORD dst_unused:UNUSED_PAD src0_sel:BYTE_0 src1_sel:DWORD
	v_cndmask_b32_e64 v60, 16, v60, s4
	v_cmp_ne_u32_e64 s4, 5, v48
	v_or_b32_sdwa v57, v60, v57 dst_sel:WORD_1 dst_unused:UNUSED_PAD src0_sel:BYTE_0 src1_sel:DWORD
	v_cndmask_b32_e64 v61, 16, v61, s4
	v_cmp_ne_u32_e64 s4, 7, v48
	v_lshlrev_b16 v61, 8, v61
	v_cndmask_b32_e64 v62, 16, v62, s4
	v_cmp_ne_u32_e64 s4, 4, v48
	v_lshlrev_b16 v62, 8, v62
	v_cndmask_b32_e64 v64, 16, v20, s4
	v_cmp_ne_u32_e64 s4, 6, v48
	v_cndmask_b32_e64 v63, 16, v63, s4
	v_cmp_ne_u32_e64 s4, 14, v48
	v_or_b32_sdwa v59, v63, v62 dst_sel:WORD_1 dst_unused:UNUSED_PAD src0_sel:BYTE_0 src1_sel:DWORD
	v_cndmask_b32_e64 v48, 16, v58, s4
	v_cmp_ne_u32_e64 s4, 1, v46
	v_or_b32_sdwa v58, v64, v61 dst_sel:DWORD dst_unused:UNUSED_PAD src0_sel:BYTE_0 src1_sel:DWORD
	v_or_b32_sdwa v48, v48, v54 dst_sel:WORD_1 dst_unused:UNUSED_PAD src0_sel:BYTE_0 src1_sel:DWORD
	v_or_b32_sdwa v54, v56, v57 dst_sel:DWORD dst_unused:UNUSED_PAD src0_sel:WORD_0 src1_sel:DWORD
	v_or_b32_sdwa v52, v58, v59 dst_sel:DWORD dst_unused:UNUSED_PAD src0_sel:WORD_0 src1_sel:DWORD
	;; [unrolled: 1-line block ×4, first 2 shown]
	v_lshrrev_b32_e32 v50, 8, v19
	v_cndmask_b32_e32 v20, v52, v20, vcc_lo
	v_cndmask_b32_e32 v21, v54, v21, vcc_lo
	;; [unrolled: 1-line block ×3, first 2 shown]
	v_lshrrev_b32_e32 v40, 24, v19
	v_cndmask_b32_e64 v49, 17, v50, s4
	v_cmp_ne_u32_e64 s4, 3, v46
	v_lshrrev_b32_e32 v50, 16, v19
	v_cndmask_b32_e32 v23, v48, v23, vcc_lo
	v_lshrrev_b32_e32 v48, 8, v25
	v_lshlrev_b16 v49, 8, v49
	v_cndmask_b32_e64 v40, 17, v40, s4
	v_cmp_ne_u32_e64 s4, 0, v46
	v_cmp_ne_u32_e32 vcc_lo, 21, v46
	v_lshrrev_b32_e32 v52, 16, v25
	v_lshrrev_b32_e32 v53, 8, v23
	v_lshlrev_b16 v40, 8, v40
	v_cndmask_b32_e64 v51, 17, v19, s4
	v_cmp_ne_u32_e64 s4, 2, v46
	v_cndmask_b32_e32 v48, 17, v48, vcc_lo
	v_cmp_ne_u32_e32 vcc_lo, 23, v46
	v_lshrrev_b32_e32 v54, 8, v21
	v_or_b32_sdwa v49, v51, v49 dst_sel:DWORD dst_unused:UNUSED_PAD src0_sel:BYTE_0 src1_sel:DWORD
	v_cndmask_b32_e64 v50, 17, v50, s4
	v_lshrrev_b32_e32 v51, 24, v25
	v_lshlrev_b16 v48, 8, v48
	v_cmp_ne_u32_e64 s4, 18, v46
	v_lshrrev_b32_e32 v55, 24, v21
	v_or_b32_sdwa v40, v50, v40 dst_sel:WORD_1 dst_unused:UNUSED_PAD src0_sel:BYTE_0 src1_sel:DWORD
	v_cndmask_b32_e32 v50, 17, v51, vcc_lo
	v_cmp_ne_u32_e32 vcc_lo, 20, v46
	v_lshrrev_b32_e32 v58, 16, v21
	v_lshrrev_b32_e32 v59, 8, v20
	v_or_b32_sdwa v40, v49, v40 dst_sel:DWORD dst_unused:UNUSED_PAD src0_sel:WORD_0 src1_sel:DWORD
	v_lshlrev_b16 v50, 8, v50
	v_cndmask_b32_e32 v51, 17, v25, vcc_lo
	v_cmp_ne_u32_e32 vcc_lo, 22, v46
	v_lshrrev_b32_e32 v60, 24, v20
	v_lshrrev_b32_e32 v61, 16, v20
	;; [unrolled: 1-line block ×3, first 2 shown]
	v_or_b32_sdwa v48, v51, v48 dst_sel:DWORD dst_unused:UNUSED_PAD src0_sel:BYTE_0 src1_sel:DWORD
	v_cndmask_b32_e32 v52, 17, v52, vcc_lo
	v_cmp_ne_u32_e32 vcc_lo, 17, v46
	v_lshrrev_b32_e32 v51, 24, v23
	v_or_b32_sdwa v50, v52, v50 dst_sel:WORD_1 dst_unused:UNUSED_PAD src0_sel:BYTE_0 src1_sel:DWORD
	v_cndmask_b32_e32 v49, 17, v53, vcc_lo
	v_cmp_ne_u32_e32 vcc_lo, 16, v46
	v_lshlrev_b16 v49, 8, v49
	v_cndmask_b32_e32 v52, 17, v23, vcc_lo
	v_cmp_ne_u32_e32 vcc_lo, 19, v46
	v_cndmask_b32_e32 v51, 17, v51, vcc_lo
	v_cmp_eq_u32_e32 vcc_lo, 0, v47
	v_or_b32_sdwa v47, v48, v50 dst_sel:DWORD dst_unused:UNUSED_PAD src0_sel:WORD_0 src1_sel:DWORD
	v_or_b32_sdwa v48, v52, v49 dst_sel:DWORD dst_unused:UNUSED_PAD src0_sel:BYTE_0 src1_sel:DWORD
	v_lshrrev_b32_e32 v49, 16, v23
	v_lshlrev_b16 v50, 8, v51
	v_lshrrev_b32_e32 v51, 8, v22
	v_lshrrev_b32_e32 v52, 24, v22
	v_cndmask_b32_e32 v19, v40, v19, vcc_lo
	v_cndmask_b32_e64 v49, 17, v49, s4
	v_cmp_ne_u32_e64 s4, 13, v46
	v_cndmask_b32_e32 v25, v47, v25, vcc_lo
	v_or_b32_sdwa v49, v49, v50 dst_sel:WORD_1 dst_unused:UNUSED_PAD src0_sel:BYTE_0 src1_sel:DWORD
	v_cndmask_b32_e64 v51, 17, v51, s4
	v_cmp_ne_u32_e64 s4, 15, v46
	v_lshlrev_b16 v51, 8, v51
	v_cndmask_b32_e64 v52, 17, v52, s4
	v_cmp_ne_u32_e64 s4, 12, v46
	v_lshlrev_b16 v52, 8, v52
	v_cndmask_b32_e64 v53, 17, v22, s4
	v_cmp_ne_u32_e64 s4, 9, v46
	v_or_b32_sdwa v51, v53, v51 dst_sel:DWORD dst_unused:UNUSED_PAD src0_sel:BYTE_0 src1_sel:DWORD
	v_cndmask_b32_e64 v54, 17, v54, s4
	v_cmp_ne_u32_e64 s4, 11, v46
	v_lshlrev_b16 v54, 8, v54
	v_cndmask_b32_e64 v55, 17, v55, s4
	v_cmp_ne_u32_e64 s4, 8, v46
	v_lshlrev_b16 v55, 8, v55
	v_cndmask_b32_e64 v57, 17, v21, s4
	v_cmp_ne_u32_e64 s4, 10, v46
	v_or_b32_sdwa v54, v57, v54 dst_sel:DWORD dst_unused:UNUSED_PAD src0_sel:BYTE_0 src1_sel:DWORD
	v_cndmask_b32_e64 v58, 17, v58, s4
	v_cmp_ne_u32_e64 s4, 5, v46
	v_or_b32_sdwa v55, v58, v55 dst_sel:WORD_1 dst_unused:UNUSED_PAD src0_sel:BYTE_0 src1_sel:DWORD
	v_cndmask_b32_e64 v59, 17, v59, s4
	v_cmp_ne_u32_e64 s4, 7, v46
	v_lshlrev_b16 v59, 8, v59
	v_cndmask_b32_e64 v60, 17, v60, s4
	v_cmp_ne_u32_e64 s4, 4, v46
	v_lshlrev_b16 v60, 8, v60
	v_cndmask_b32_e64 v62, 17, v20, s4
	v_cmp_ne_u32_e64 s4, 6, v46
	v_cndmask_b32_e64 v61, 17, v61, s4
	v_cmp_ne_u32_e64 s4, 14, v46
	v_or_b32_sdwa v57, v61, v60 dst_sel:WORD_1 dst_unused:UNUSED_PAD src0_sel:BYTE_0 src1_sel:DWORD
	v_cndmask_b32_e64 v46, 17, v56, s4
	v_cmp_ne_u32_e64 s4, 1, v44
	v_or_b32_sdwa v56, v62, v59 dst_sel:DWORD dst_unused:UNUSED_PAD src0_sel:BYTE_0 src1_sel:DWORD
	v_or_b32_sdwa v46, v46, v52 dst_sel:WORD_1 dst_unused:UNUSED_PAD src0_sel:BYTE_0 src1_sel:DWORD
	v_or_b32_sdwa v52, v54, v55 dst_sel:DWORD dst_unused:UNUSED_PAD src0_sel:WORD_0 src1_sel:DWORD
	v_or_b32_sdwa v50, v56, v57 dst_sel:DWORD dst_unused:UNUSED_PAD src0_sel:WORD_0 src1_sel:DWORD
	;; [unrolled: 1-line block ×4, first 2 shown]
	v_lshrrev_b32_e32 v48, 8, v19
	v_cndmask_b32_e32 v20, v50, v20, vcc_lo
	v_cndmask_b32_e32 v21, v52, v21, vcc_lo
	;; [unrolled: 1-line block ×3, first 2 shown]
	v_lshrrev_b32_e32 v40, 24, v19
	v_cndmask_b32_e64 v47, 18, v48, s4
	v_cmp_ne_u32_e64 s4, 3, v44
	v_lshrrev_b32_e32 v48, 16, v19
	v_cndmask_b32_e32 v23, v46, v23, vcc_lo
	v_lshrrev_b32_e32 v46, 8, v25
	v_lshlrev_b16 v47, 8, v47
	v_cndmask_b32_e64 v40, 18, v40, s4
	v_cmp_ne_u32_e64 s4, 0, v44
	v_cmp_ne_u32_e32 vcc_lo, 21, v44
	v_lshrrev_b32_e32 v50, 16, v25
	v_lshrrev_b32_e32 v51, 8, v23
	v_lshlrev_b16 v40, 8, v40
	v_cndmask_b32_e64 v49, 18, v19, s4
	v_cmp_ne_u32_e64 s4, 2, v44
	v_cndmask_b32_e32 v46, 18, v46, vcc_lo
	v_cmp_ne_u32_e32 vcc_lo, 23, v44
	v_lshrrev_b32_e32 v52, 8, v21
	v_or_b32_sdwa v47, v49, v47 dst_sel:DWORD dst_unused:UNUSED_PAD src0_sel:BYTE_0 src1_sel:DWORD
	v_cndmask_b32_e64 v48, 18, v48, s4
	v_lshrrev_b32_e32 v49, 24, v25
	v_lshlrev_b16 v46, 8, v46
	v_cmp_ne_u32_e64 s4, 18, v44
	v_lshrrev_b32_e32 v53, 24, v21
	v_or_b32_sdwa v40, v48, v40 dst_sel:WORD_1 dst_unused:UNUSED_PAD src0_sel:BYTE_0 src1_sel:DWORD
	v_cndmask_b32_e32 v48, 18, v49, vcc_lo
	v_cmp_ne_u32_e32 vcc_lo, 20, v44
	v_lshrrev_b32_e32 v56, 16, v21
	v_lshrrev_b32_e32 v57, 8, v20
	v_or_b32_sdwa v40, v47, v40 dst_sel:DWORD dst_unused:UNUSED_PAD src0_sel:WORD_0 src1_sel:DWORD
	v_lshlrev_b16 v48, 8, v48
	v_cndmask_b32_e32 v49, 18, v25, vcc_lo
	v_cmp_ne_u32_e32 vcc_lo, 22, v44
	v_lshrrev_b32_e32 v58, 24, v20
	v_lshrrev_b32_e32 v59, 16, v20
	;; [unrolled: 1-line block ×3, first 2 shown]
	v_or_b32_sdwa v46, v49, v46 dst_sel:DWORD dst_unused:UNUSED_PAD src0_sel:BYTE_0 src1_sel:DWORD
	v_cndmask_b32_e32 v50, 18, v50, vcc_lo
	v_cmp_ne_u32_e32 vcc_lo, 17, v44
	v_lshrrev_b32_e32 v49, 24, v23
	v_or_b32_sdwa v48, v50, v48 dst_sel:WORD_1 dst_unused:UNUSED_PAD src0_sel:BYTE_0 src1_sel:DWORD
	v_cndmask_b32_e32 v47, 18, v51, vcc_lo
	v_cmp_ne_u32_e32 vcc_lo, 16, v44
	v_lshlrev_b16 v47, 8, v47
	v_cndmask_b32_e32 v50, 18, v23, vcc_lo
	v_cmp_ne_u32_e32 vcc_lo, 19, v44
	v_cndmask_b32_e32 v49, 18, v49, vcc_lo
	v_cmp_eq_u32_e32 vcc_lo, 0, v45
	v_or_b32_sdwa v45, v46, v48 dst_sel:DWORD dst_unused:UNUSED_PAD src0_sel:WORD_0 src1_sel:DWORD
	v_or_b32_sdwa v46, v50, v47 dst_sel:DWORD dst_unused:UNUSED_PAD src0_sel:BYTE_0 src1_sel:DWORD
	v_lshrrev_b32_e32 v47, 16, v23
	v_lshlrev_b16 v48, 8, v49
	v_lshrrev_b32_e32 v49, 8, v22
	v_lshrrev_b32_e32 v50, 24, v22
	v_cndmask_b32_e32 v19, v40, v19, vcc_lo
	v_cndmask_b32_e64 v47, 18, v47, s4
	v_cmp_ne_u32_e64 s4, 13, v44
	v_cndmask_b32_e32 v25, v45, v25, vcc_lo
	v_or_b32_sdwa v47, v47, v48 dst_sel:WORD_1 dst_unused:UNUSED_PAD src0_sel:BYTE_0 src1_sel:DWORD
	v_cndmask_b32_e64 v49, 18, v49, s4
	v_cmp_ne_u32_e64 s4, 15, v44
	v_lshlrev_b16 v49, 8, v49
	v_cndmask_b32_e64 v50, 18, v50, s4
	v_cmp_ne_u32_e64 s4, 12, v44
	v_lshlrev_b16 v50, 8, v50
	v_cndmask_b32_e64 v51, 18, v22, s4
	v_cmp_ne_u32_e64 s4, 9, v44
	v_or_b32_sdwa v49, v51, v49 dst_sel:DWORD dst_unused:UNUSED_PAD src0_sel:BYTE_0 src1_sel:DWORD
	v_cndmask_b32_e64 v52, 18, v52, s4
	v_cmp_ne_u32_e64 s4, 11, v44
	v_lshlrev_b16 v52, 8, v52
	v_cndmask_b32_e64 v53, 18, v53, s4
	v_cmp_ne_u32_e64 s4, 8, v44
	v_lshlrev_b16 v53, 8, v53
	v_cndmask_b32_e64 v55, 18, v21, s4
	v_cmp_ne_u32_e64 s4, 10, v44
	v_or_b32_sdwa v52, v55, v52 dst_sel:DWORD dst_unused:UNUSED_PAD src0_sel:BYTE_0 src1_sel:DWORD
	v_cndmask_b32_e64 v56, 18, v56, s4
	v_cmp_ne_u32_e64 s4, 5, v44
	v_or_b32_sdwa v53, v56, v53 dst_sel:WORD_1 dst_unused:UNUSED_PAD src0_sel:BYTE_0 src1_sel:DWORD
	v_cndmask_b32_e64 v57, 18, v57, s4
	v_cmp_ne_u32_e64 s4, 7, v44
	v_lshlrev_b16 v57, 8, v57
	v_cndmask_b32_e64 v58, 18, v58, s4
	v_cmp_ne_u32_e64 s4, 4, v44
	v_lshlrev_b16 v58, 8, v58
	v_cndmask_b32_e64 v60, 18, v20, s4
	v_cmp_ne_u32_e64 s4, 6, v44
	v_cndmask_b32_e64 v59, 18, v59, s4
	v_cmp_ne_u32_e64 s4, 14, v44
	v_or_b32_sdwa v55, v59, v58 dst_sel:WORD_1 dst_unused:UNUSED_PAD src0_sel:BYTE_0 src1_sel:DWORD
	v_cndmask_b32_e64 v44, 18, v54, s4
	v_cmp_ne_u32_e64 s4, 1, v42
	v_or_b32_sdwa v54, v60, v57 dst_sel:DWORD dst_unused:UNUSED_PAD src0_sel:BYTE_0 src1_sel:DWORD
	v_or_b32_sdwa v44, v44, v50 dst_sel:WORD_1 dst_unused:UNUSED_PAD src0_sel:BYTE_0 src1_sel:DWORD
	v_or_b32_sdwa v50, v52, v53 dst_sel:DWORD dst_unused:UNUSED_PAD src0_sel:WORD_0 src1_sel:DWORD
	v_or_b32_sdwa v48, v54, v55 dst_sel:DWORD dst_unused:UNUSED_PAD src0_sel:WORD_0 src1_sel:DWORD
	;; [unrolled: 1-line block ×4, first 2 shown]
	v_lshrrev_b32_e32 v46, 8, v19
	v_cndmask_b32_e32 v20, v48, v20, vcc_lo
	v_cndmask_b32_e32 v21, v50, v21, vcc_lo
	;; [unrolled: 1-line block ×3, first 2 shown]
	v_lshrrev_b32_e32 v40, 24, v19
	v_cndmask_b32_e64 v45, 19, v46, s4
	v_cmp_ne_u32_e64 s4, 3, v42
	v_lshrrev_b32_e32 v46, 16, v19
	v_cndmask_b32_e32 v23, v44, v23, vcc_lo
	v_lshrrev_b32_e32 v44, 8, v25
	v_lshlrev_b16 v45, 8, v45
	v_cndmask_b32_e64 v40, 19, v40, s4
	v_cmp_ne_u32_e64 s4, 0, v42
	v_cmp_ne_u32_e32 vcc_lo, 21, v42
	v_lshrrev_b32_e32 v48, 16, v25
	v_lshrrev_b32_e32 v49, 8, v23
	v_lshlrev_b16 v40, 8, v40
	v_cndmask_b32_e64 v47, 19, v19, s4
	v_cmp_ne_u32_e64 s4, 2, v42
	v_cndmask_b32_e32 v44, 19, v44, vcc_lo
	v_cmp_ne_u32_e32 vcc_lo, 23, v42
	v_lshrrev_b32_e32 v50, 8, v21
	v_or_b32_sdwa v45, v47, v45 dst_sel:DWORD dst_unused:UNUSED_PAD src0_sel:BYTE_0 src1_sel:DWORD
	v_cndmask_b32_e64 v46, 19, v46, s4
	v_lshrrev_b32_e32 v47, 24, v25
	v_lshlrev_b16 v44, 8, v44
	v_cmp_ne_u32_e64 s4, 18, v42
	v_lshrrev_b32_e32 v51, 24, v21
	v_or_b32_sdwa v40, v46, v40 dst_sel:WORD_1 dst_unused:UNUSED_PAD src0_sel:BYTE_0 src1_sel:DWORD
	v_cndmask_b32_e32 v46, 19, v47, vcc_lo
	v_cmp_ne_u32_e32 vcc_lo, 20, v42
	v_lshrrev_b32_e32 v54, 16, v21
	v_lshrrev_b32_e32 v55, 8, v20
	v_or_b32_sdwa v40, v45, v40 dst_sel:DWORD dst_unused:UNUSED_PAD src0_sel:WORD_0 src1_sel:DWORD
	v_lshlrev_b16 v46, 8, v46
	v_cndmask_b32_e32 v47, 19, v25, vcc_lo
	v_cmp_ne_u32_e32 vcc_lo, 22, v42
	v_lshrrev_b32_e32 v56, 24, v20
	v_lshrrev_b32_e32 v57, 16, v20
	;; [unrolled: 1-line block ×3, first 2 shown]
	v_or_b32_sdwa v44, v47, v44 dst_sel:DWORD dst_unused:UNUSED_PAD src0_sel:BYTE_0 src1_sel:DWORD
	v_cndmask_b32_e32 v48, 19, v48, vcc_lo
	v_cmp_ne_u32_e32 vcc_lo, 17, v42
	v_lshrrev_b32_e32 v47, 24, v23
	v_or_b32_sdwa v46, v48, v46 dst_sel:WORD_1 dst_unused:UNUSED_PAD src0_sel:BYTE_0 src1_sel:DWORD
	v_cndmask_b32_e32 v45, 19, v49, vcc_lo
	v_cmp_ne_u32_e32 vcc_lo, 16, v42
	v_lshlrev_b16 v45, 8, v45
	v_cndmask_b32_e32 v48, 19, v23, vcc_lo
	v_cmp_ne_u32_e32 vcc_lo, 19, v42
	v_cndmask_b32_e32 v47, 19, v47, vcc_lo
	v_cmp_eq_u32_e32 vcc_lo, 0, v43
	v_or_b32_sdwa v43, v44, v46 dst_sel:DWORD dst_unused:UNUSED_PAD src0_sel:WORD_0 src1_sel:DWORD
	v_or_b32_sdwa v44, v48, v45 dst_sel:DWORD dst_unused:UNUSED_PAD src0_sel:BYTE_0 src1_sel:DWORD
	v_lshrrev_b32_e32 v45, 16, v23
	v_lshlrev_b16 v46, 8, v47
	v_lshrrev_b32_e32 v47, 8, v22
	v_lshrrev_b32_e32 v48, 24, v22
	v_cndmask_b32_e32 v19, v40, v19, vcc_lo
	v_cndmask_b32_e64 v45, 19, v45, s4
	v_cmp_ne_u32_e64 s4, 13, v42
	v_cndmask_b32_e32 v25, v43, v25, vcc_lo
	v_or_b32_sdwa v45, v45, v46 dst_sel:WORD_1 dst_unused:UNUSED_PAD src0_sel:BYTE_0 src1_sel:DWORD
	v_cndmask_b32_e64 v47, 19, v47, s4
	v_cmp_ne_u32_e64 s4, 15, v42
	v_lshlrev_b16 v47, 8, v47
	v_cndmask_b32_e64 v48, 19, v48, s4
	v_cmp_ne_u32_e64 s4, 12, v42
	v_lshlrev_b16 v48, 8, v48
	v_cndmask_b32_e64 v49, 19, v22, s4
	v_cmp_ne_u32_e64 s4, 9, v42
	v_or_b32_sdwa v47, v49, v47 dst_sel:DWORD dst_unused:UNUSED_PAD src0_sel:BYTE_0 src1_sel:DWORD
	v_cndmask_b32_e64 v50, 19, v50, s4
	v_cmp_ne_u32_e64 s4, 11, v42
	v_lshlrev_b16 v50, 8, v50
	v_cndmask_b32_e64 v51, 19, v51, s4
	v_cmp_ne_u32_e64 s4, 8, v42
	v_lshlrev_b16 v51, 8, v51
	v_cndmask_b32_e64 v53, 19, v21, s4
	v_cmp_ne_u32_e64 s4, 10, v42
	v_or_b32_sdwa v50, v53, v50 dst_sel:DWORD dst_unused:UNUSED_PAD src0_sel:BYTE_0 src1_sel:DWORD
	v_cndmask_b32_e64 v54, 19, v54, s4
	v_cmp_ne_u32_e64 s4, 5, v42
	v_or_b32_sdwa v51, v54, v51 dst_sel:WORD_1 dst_unused:UNUSED_PAD src0_sel:BYTE_0 src1_sel:DWORD
	v_cndmask_b32_e64 v55, 19, v55, s4
	v_cmp_ne_u32_e64 s4, 7, v42
	v_lshlrev_b16 v55, 8, v55
	v_cndmask_b32_e64 v56, 19, v56, s4
	v_cmp_ne_u32_e64 s4, 4, v42
	v_lshlrev_b16 v56, 8, v56
	v_cndmask_b32_e64 v58, 19, v20, s4
	v_cmp_ne_u32_e64 s4, 6, v42
	v_cndmask_b32_e64 v57, 19, v57, s4
	v_cmp_ne_u32_e64 s4, 14, v42
	v_or_b32_sdwa v53, v57, v56 dst_sel:WORD_1 dst_unused:UNUSED_PAD src0_sel:BYTE_0 src1_sel:DWORD
	v_cndmask_b32_e64 v42, 19, v52, s4
	v_cmp_ne_u32_e64 s4, 1, v35
	v_or_b32_sdwa v52, v58, v55 dst_sel:DWORD dst_unused:UNUSED_PAD src0_sel:BYTE_0 src1_sel:DWORD
	v_or_b32_sdwa v42, v42, v48 dst_sel:WORD_1 dst_unused:UNUSED_PAD src0_sel:BYTE_0 src1_sel:DWORD
	v_or_b32_sdwa v48, v50, v51 dst_sel:DWORD dst_unused:UNUSED_PAD src0_sel:WORD_0 src1_sel:DWORD
	v_or_b32_sdwa v46, v52, v53 dst_sel:DWORD dst_unused:UNUSED_PAD src0_sel:WORD_0 src1_sel:DWORD
	;; [unrolled: 1-line block ×4, first 2 shown]
	v_lshrrev_b32_e32 v44, 8, v19
	v_cndmask_b32_e32 v20, v46, v20, vcc_lo
	v_cndmask_b32_e32 v21, v48, v21, vcc_lo
	;; [unrolled: 1-line block ×3, first 2 shown]
	v_lshrrev_b32_e32 v40, 24, v19
	v_cndmask_b32_e64 v43, 20, v44, s4
	v_cmp_ne_u32_e64 s4, 3, v35
	v_lshrrev_b32_e32 v44, 16, v19
	v_cndmask_b32_e32 v23, v42, v23, vcc_lo
	v_lshrrev_b32_e32 v42, 8, v25
	v_lshlrev_b16 v43, 8, v43
	v_cndmask_b32_e64 v40, 20, v40, s4
	v_cmp_ne_u32_e64 s4, 0, v35
	v_cmp_ne_u32_e32 vcc_lo, 21, v35
	v_lshrrev_b32_e32 v46, 16, v25
	v_lshrrev_b32_e32 v47, 8, v23
	v_lshlrev_b16 v40, 8, v40
	v_cndmask_b32_e64 v45, 20, v19, s4
	v_cmp_ne_u32_e64 s4, 2, v35
	v_cndmask_b32_e32 v42, 20, v42, vcc_lo
	v_cmp_ne_u32_e32 vcc_lo, 23, v35
	v_lshrrev_b32_e32 v48, 8, v21
	v_or_b32_sdwa v43, v45, v43 dst_sel:DWORD dst_unused:UNUSED_PAD src0_sel:BYTE_0 src1_sel:DWORD
	v_cndmask_b32_e64 v44, 20, v44, s4
	v_lshrrev_b32_e32 v45, 24, v25
	v_lshlrev_b16 v42, 8, v42
	v_cmp_ne_u32_e64 s4, 18, v35
	v_lshrrev_b32_e32 v49, 24, v21
	v_or_b32_sdwa v40, v44, v40 dst_sel:WORD_1 dst_unused:UNUSED_PAD src0_sel:BYTE_0 src1_sel:DWORD
	v_cndmask_b32_e32 v44, 20, v45, vcc_lo
	v_cmp_ne_u32_e32 vcc_lo, 20, v35
	v_lshrrev_b32_e32 v52, 16, v21
	v_lshrrev_b32_e32 v53, 8, v20
	v_or_b32_sdwa v40, v43, v40 dst_sel:DWORD dst_unused:UNUSED_PAD src0_sel:WORD_0 src1_sel:DWORD
	v_lshlrev_b16 v44, 8, v44
	v_cndmask_b32_e32 v45, 20, v25, vcc_lo
	v_cmp_ne_u32_e32 vcc_lo, 22, v35
	v_lshrrev_b32_e32 v54, 24, v20
	v_lshrrev_b32_e32 v55, 16, v20
	;; [unrolled: 1-line block ×3, first 2 shown]
	v_or_b32_sdwa v42, v45, v42 dst_sel:DWORD dst_unused:UNUSED_PAD src0_sel:BYTE_0 src1_sel:DWORD
	v_cndmask_b32_e32 v46, 20, v46, vcc_lo
	v_cmp_ne_u32_e32 vcc_lo, 17, v35
	v_lshrrev_b32_e32 v45, 24, v23
	v_or_b32_sdwa v44, v46, v44 dst_sel:WORD_1 dst_unused:UNUSED_PAD src0_sel:BYTE_0 src1_sel:DWORD
	v_cndmask_b32_e32 v43, 20, v47, vcc_lo
	v_cmp_ne_u32_e32 vcc_lo, 16, v35
	v_lshlrev_b16 v43, 8, v43
	v_cndmask_b32_e32 v46, 20, v23, vcc_lo
	v_cmp_ne_u32_e32 vcc_lo, 19, v35
	v_cndmask_b32_e32 v45, 20, v45, vcc_lo
	v_cmp_eq_u32_e32 vcc_lo, 0, v41
	v_or_b32_sdwa v41, v42, v44 dst_sel:DWORD dst_unused:UNUSED_PAD src0_sel:WORD_0 src1_sel:DWORD
	v_or_b32_sdwa v42, v46, v43 dst_sel:DWORD dst_unused:UNUSED_PAD src0_sel:BYTE_0 src1_sel:DWORD
	v_lshrrev_b32_e32 v43, 16, v23
	v_lshlrev_b16 v44, 8, v45
	v_lshrrev_b32_e32 v45, 8, v22
	v_lshrrev_b32_e32 v46, 24, v22
	v_cndmask_b32_e32 v19, v40, v19, vcc_lo
	v_cndmask_b32_e64 v43, 20, v43, s4
	v_cmp_ne_u32_e64 s4, 13, v35
	v_cndmask_b32_e32 v25, v41, v25, vcc_lo
	v_or_b32_sdwa v43, v43, v44 dst_sel:WORD_1 dst_unused:UNUSED_PAD src0_sel:BYTE_0 src1_sel:DWORD
	v_cndmask_b32_e64 v45, 20, v45, s4
	v_cmp_ne_u32_e64 s4, 15, v35
	v_or_b32_sdwa v40, v42, v43 dst_sel:DWORD dst_unused:UNUSED_PAD src0_sel:WORD_0 src1_sel:DWORD
	v_lshlrev_b16 v45, 8, v45
	v_cndmask_b32_e64 v46, 20, v46, s4
	v_cmp_ne_u32_e64 s4, 12, v35
	v_lshrrev_b32_e32 v42, 8, v19
	v_cndmask_b32_e32 v23, v40, v23, vcc_lo
	v_lshrrev_b32_e32 v40, 8, v25
	v_lshlrev_b16 v46, 8, v46
	v_cndmask_b32_e64 v47, 20, v22, s4
	v_cmp_ne_u32_e64 s4, 9, v35
	v_or_b32_sdwa v45, v47, v45 dst_sel:DWORD dst_unused:UNUSED_PAD src0_sel:BYTE_0 src1_sel:DWORD
	v_cndmask_b32_e64 v48, 20, v48, s4
	v_cmp_ne_u32_e64 s4, 11, v35
	v_lshlrev_b16 v48, 8, v48
	v_cndmask_b32_e64 v49, 20, v49, s4
	v_cmp_ne_u32_e64 s4, 8, v35
	v_lshlrev_b16 v49, 8, v49
	v_cndmask_b32_e64 v51, 20, v21, s4
	v_cmp_ne_u32_e64 s4, 10, v35
	v_or_b32_sdwa v48, v51, v48 dst_sel:DWORD dst_unused:UNUSED_PAD src0_sel:BYTE_0 src1_sel:DWORD
	v_cndmask_b32_e64 v52, 20, v52, s4
	v_cmp_ne_u32_e64 s4, 5, v35
	v_or_b32_sdwa v49, v52, v49 dst_sel:WORD_1 dst_unused:UNUSED_PAD src0_sel:BYTE_0 src1_sel:DWORD
	v_cndmask_b32_e64 v53, 20, v53, s4
	v_cmp_ne_u32_e64 s4, 7, v35
	v_lshlrev_b16 v53, 8, v53
	v_cndmask_b32_e64 v54, 20, v54, s4
	v_cmp_ne_u32_e64 s4, 4, v35
	v_lshlrev_b16 v54, 8, v54
	v_cndmask_b32_e64 v56, 20, v20, s4
	v_cmp_ne_u32_e64 s4, 6, v35
	v_cndmask_b32_e64 v55, 20, v55, s4
	v_cmp_ne_u32_e64 s4, 14, v35
	v_or_b32_sdwa v51, v55, v54 dst_sel:WORD_1 dst_unused:UNUSED_PAD src0_sel:BYTE_0 src1_sel:DWORD
	v_cndmask_b32_e64 v35, 20, v50, s4
	v_cmp_ne_u32_e64 s4, 1, v29
	v_or_b32_sdwa v50, v56, v53 dst_sel:DWORD dst_unused:UNUSED_PAD src0_sel:BYTE_0 src1_sel:DWORD
	v_or_b32_sdwa v35, v35, v46 dst_sel:WORD_1 dst_unused:UNUSED_PAD src0_sel:BYTE_0 src1_sel:DWORD
	v_cndmask_b32_e64 v41, 21, v42, s4
	v_cmp_ne_u32_e64 s4, 3, v29
	v_or_b32_sdwa v44, v50, v51 dst_sel:DWORD dst_unused:UNUSED_PAD src0_sel:WORD_0 src1_sel:DWORD
	v_or_b32_sdwa v46, v48, v49 dst_sel:DWORD dst_unused:UNUSED_PAD src0_sel:WORD_0 src1_sel:DWORD
	;; [unrolled: 1-line block ×3, first 2 shown]
	v_lshrrev_b32_e32 v42, 16, v19
	v_lshlrev_b16 v41, 8, v41
	v_cndmask_b32_e32 v20, v44, v20, vcc_lo
	v_cndmask_b32_e32 v21, v46, v21, vcc_lo
	;; [unrolled: 1-line block ×3, first 2 shown]
	v_lshrrev_b32_e32 v35, 24, v19
	v_cmp_ne_u32_e32 vcc_lo, 21, v29
	v_lshrrev_b32_e32 v50, 8, v20
	v_lshrrev_b32_e32 v46, 8, v21
	v_lshrrev_b32_e32 v47, 16, v22
	v_cndmask_b32_e64 v35, 21, v35, s4
	v_cmp_ne_u32_e64 s4, 0, v29
	v_cndmask_b32_e32 v40, 21, v40, vcc_lo
	v_cmp_ne_u32_e32 vcc_lo, 23, v29
	v_lshrrev_b32_e32 v48, 24, v21
	v_lshlrev_b16 v35, 8, v35
	v_cndmask_b32_e64 v43, 21, v19, s4
	v_cmp_ne_u32_e64 s4, 2, v29
	v_lshlrev_b16 v40, 8, v40
	v_lshrrev_b32_e32 v51, 24, v20
	v_lshrrev_b32_e32 v53, 16, v20
	v_or_b32_sdwa v41, v43, v41 dst_sel:DWORD dst_unused:UNUSED_PAD src0_sel:BYTE_0 src1_sel:DWORD
	v_cndmask_b32_e64 v42, 21, v42, s4
	v_lshrrev_b32_e32 v43, 24, v25
	v_lshrrev_b32_e32 v52, 16, v21
	v_cmp_ne_u32_e64 s4, 1, v26
	v_or_b32_sdwa v35, v42, v35 dst_sel:WORD_1 dst_unused:UNUSED_PAD src0_sel:BYTE_0 src1_sel:DWORD
	v_cndmask_b32_e32 v42, 21, v43, vcc_lo
	v_cmp_ne_u32_e32 vcc_lo, 20, v29
	v_lshrrev_b32_e32 v43, 16, v25
	v_or_b32_sdwa v35, v41, v35 dst_sel:DWORD dst_unused:UNUSED_PAD src0_sel:WORD_0 src1_sel:DWORD
	v_lshrrev_b32_e32 v41, 8, v23
	v_cndmask_b32_e32 v44, 21, v25, vcc_lo
	v_cmp_ne_u32_e32 vcc_lo, 22, v29
	v_lshlrev_b16 v42, 8, v42
	v_or_b32_sdwa v40, v44, v40 dst_sel:DWORD dst_unused:UNUSED_PAD src0_sel:BYTE_0 src1_sel:DWORD
	v_cndmask_b32_e32 v43, 21, v43, vcc_lo
	v_cmp_ne_u32_e32 vcc_lo, 17, v29
	v_lshrrev_b32_e32 v44, 24, v23
	v_or_b32_sdwa v42, v43, v42 dst_sel:WORD_1 dst_unused:UNUSED_PAD src0_sel:BYTE_0 src1_sel:DWORD
	v_cndmask_b32_e32 v41, 21, v41, vcc_lo
	v_cmp_ne_u32_e32 vcc_lo, 19, v29
	v_or_b32_sdwa v40, v40, v42 dst_sel:DWORD dst_unused:UNUSED_PAD src0_sel:WORD_0 src1_sel:DWORD
	v_lshlrev_b16 v41, 8, v41
	v_cndmask_b32_e32 v43, 21, v44, vcc_lo
	v_cmp_ne_u32_e32 vcc_lo, 16, v29
	v_lshrrev_b32_e32 v44, 16, v23
	v_lshrrev_b32_e32 v42, 8, v22
	v_lshlrev_b16 v43, 8, v43
	v_cndmask_b32_e32 v45, 21, v23, vcc_lo
	v_cmp_ne_u32_e32 vcc_lo, 18, v29
	v_or_b32_sdwa v41, v45, v41 dst_sel:DWORD dst_unused:UNUSED_PAD src0_sel:BYTE_0 src1_sel:DWORD
	v_cndmask_b32_e32 v44, 21, v44, vcc_lo
	v_cmp_ne_u32_e32 vcc_lo, 13, v29
	v_lshrrev_b32_e32 v45, 24, v22
	v_or_b32_sdwa v43, v44, v43 dst_sel:WORD_1 dst_unused:UNUSED_PAD src0_sel:BYTE_0 src1_sel:DWORD
	v_cndmask_b32_e32 v42, 21, v42, vcc_lo
	v_cmp_ne_u32_e32 vcc_lo, 15, v29
	v_lshlrev_b16 v42, 8, v42
	v_cndmask_b32_e32 v44, 21, v45, vcc_lo
	v_cmp_ne_u32_e32 vcc_lo, 12, v29
	v_lshlrev_b16 v44, 8, v44
	v_cndmask_b32_e32 v45, 21, v22, vcc_lo
	v_cmp_ne_u32_e32 vcc_lo, 9, v29
	v_or_b32_sdwa v42, v45, v42 dst_sel:DWORD dst_unused:UNUSED_PAD src0_sel:BYTE_0 src1_sel:DWORD
	v_cndmask_b32_e32 v46, 21, v46, vcc_lo
	v_cmp_ne_u32_e32 vcc_lo, 14, v29
	v_lshlrev_b16 v46, 8, v46
	v_cndmask_b32_e32 v47, 21, v47, vcc_lo
	v_cmp_ne_u32_e32 vcc_lo, 8, v29
	v_or_b32_sdwa v44, v47, v44 dst_sel:WORD_1 dst_unused:UNUSED_PAD src0_sel:BYTE_0 src1_sel:DWORD
	v_cndmask_b32_e32 v49, 21, v21, vcc_lo
	v_cmp_ne_u32_e32 vcc_lo, 11, v29
	v_or_b32_sdwa v45, v49, v46 dst_sel:DWORD dst_unused:UNUSED_PAD src0_sel:BYTE_0 src1_sel:DWORD
	v_cndmask_b32_e32 v48, 21, v48, vcc_lo
	v_cmp_ne_u32_e32 vcc_lo, 5, v29
	v_lshlrev_b16 v48, 8, v48
	v_cndmask_b32_e32 v50, 21, v50, vcc_lo
	v_cmp_ne_u32_e32 vcc_lo, 7, v29
	v_lshlrev_b16 v50, 8, v50
	;; [unrolled: 3-line block ×3, first 2 shown]
	v_cndmask_b32_e32 v54, 21, v20, vcc_lo
	v_cmp_ne_u32_e32 vcc_lo, 6, v29
	v_or_b32_sdwa v50, v54, v50 dst_sel:DWORD dst_unused:UNUSED_PAD src0_sel:BYTE_0 src1_sel:DWORD
	v_cndmask_b32_e32 v53, 21, v53, vcc_lo
	v_cmp_ne_u32_e32 vcc_lo, 10, v29
	v_or_b32_sdwa v51, v53, v51 dst_sel:WORD_1 dst_unused:UNUSED_PAD src0_sel:BYTE_0 src1_sel:DWORD
	v_cndmask_b32_e32 v29, 21, v52, vcc_lo
	v_cmp_eq_u32_e32 vcc_lo, 0, v34
	v_or_b32_sdwa v34, v41, v43 dst_sel:DWORD dst_unused:UNUSED_PAD src0_sel:WORD_0 src1_sel:DWORD
	v_or_b32_sdwa v46, v50, v51 dst_sel:DWORD dst_unused:UNUSED_PAD src0_sel:WORD_0 src1_sel:DWORD
	v_or_b32_sdwa v29, v29, v48 dst_sel:WORD_1 dst_unused:UNUSED_PAD src0_sel:BYTE_0 src1_sel:DWORD
	v_cndmask_b32_e32 v19, v35, v19, vcc_lo
	v_cndmask_b32_e32 v25, v40, v25, vcc_lo
	v_or_b32_sdwa v35, v42, v44 dst_sel:DWORD dst_unused:UNUSED_PAD src0_sel:WORD_0 src1_sel:DWORD
	v_cndmask_b32_e32 v20, v46, v20, vcc_lo
	v_or_b32_sdwa v29, v45, v29 dst_sel:DWORD dst_unused:UNUSED_PAD src0_sel:WORD_0 src1_sel:DWORD
	v_lshrrev_b32_e32 v41, 8, v19
	v_lshrrev_b32_e32 v42, 16, v19
	v_lshrrev_b32_e32 v43, 8, v25
	v_cndmask_b32_e32 v22, v35, v22, vcc_lo
	v_cndmask_b32_e32 v21, v29, v21, vcc_lo
	v_lshrrev_b32_e32 v29, 24, v19
	v_cndmask_b32_e64 v40, 22, v41, s4
	v_cmp_ne_u32_e64 s4, 3, v26
	v_cndmask_b32_e32 v23, v34, v23, vcc_lo
	v_cmp_ne_u32_e32 vcc_lo, 22, v26
	v_lshrrev_b32_e32 v45, 8, v22
	v_lshlrev_b16 v40, 8, v40
	v_cndmask_b32_e64 v29, 22, v29, s4
	v_cmp_ne_u32_e64 s4, 0, v26
	v_lshrrev_b32_e32 v44, 16, v23
	v_lshrrev_b32_e32 v46, 24, v22
	;; [unrolled: 1-line block ×3, first 2 shown]
	v_lshlrev_b16 v29, 8, v29
	v_cndmask_b32_e64 v41, 22, v19, s4
	v_cmp_ne_u32_e64 s4, 2, v26
	v_or_b32_sdwa v35, v41, v40 dst_sel:DWORD dst_unused:UNUSED_PAD src0_sel:BYTE_0 src1_sel:DWORD
	v_cndmask_b32_e64 v42, 22, v42, s4
	v_cmp_ne_u32_e64 s4, 21, v26
	v_lshrrev_b32_e32 v41, 24, v25
	v_or_b32_sdwa v29, v42, v29 dst_sel:WORD_1 dst_unused:UNUSED_PAD src0_sel:BYTE_0 src1_sel:DWORD
	v_cndmask_b32_e64 v40, 22, v43, s4
	v_cmp_ne_u32_e64 s4, 20, v26
	v_or_b32_sdwa v29, v35, v29 dst_sel:DWORD dst_unused:UNUSED_PAD src0_sel:WORD_0 src1_sel:DWORD
	v_lshlrev_b16 v40, 8, v40
	v_cndmask_b32_e64 v42, 22, v25, s4
	v_cmp_ne_u32_e64 s4, 23, v26
	v_lshrrev_b32_e32 v35, 16, v25
	v_or_b32_sdwa v34, v42, v40 dst_sel:DWORD dst_unused:UNUSED_PAD src0_sel:BYTE_0 src1_sel:DWORD
	v_cndmask_b32_e64 v41, 22, v41, s4
	v_cndmask_b32_e32 v35, 22, v35, vcc_lo
	v_cmp_ne_u32_e32 vcc_lo, 17, v26
	v_lshrrev_b32_e32 v42, 24, v23
	v_cmp_ne_u32_e64 s4, 10, v26
	v_lshlrev_b16 v40, 8, v41
	v_lshrrev_b32_e32 v41, 8, v23
	v_or_b32_sdwa v35, v35, v40 dst_sel:WORD_1 dst_unused:UNUSED_PAD src0_sel:BYTE_0 src1_sel:DWORD
	v_cndmask_b32_e32 v41, 22, v41, vcc_lo
	v_cmp_ne_u32_e32 vcc_lo, 19, v26
	v_or_b32_sdwa v34, v34, v35 dst_sel:DWORD dst_unused:UNUSED_PAD src0_sel:WORD_0 src1_sel:DWORD
	v_lshlrev_b16 v41, 8, v41
	v_cndmask_b32_e32 v42, 22, v42, vcc_lo
	v_cmp_ne_u32_e32 vcc_lo, 16, v26
	v_lshrrev_b32_e32 v35, 8, v21
	v_lshlrev_b16 v42, 8, v42
	v_cndmask_b32_e32 v43, 22, v23, vcc_lo
	v_cmp_ne_u32_e32 vcc_lo, 18, v26
	v_or_b32_sdwa v40, v43, v41 dst_sel:DWORD dst_unused:UNUSED_PAD src0_sel:BYTE_0 src1_sel:DWORD
	v_cndmask_b32_e32 v44, 22, v44, vcc_lo
	v_cmp_ne_u32_e32 vcc_lo, 13, v26
	v_or_b32_sdwa v41, v44, v42 dst_sel:WORD_1 dst_unused:UNUSED_PAD src0_sel:BYTE_0 src1_sel:DWORD
	v_cndmask_b32_e32 v45, 22, v45, vcc_lo
	v_cmp_ne_u32_e32 vcc_lo, 15, v26
	v_lshrrev_b32_e32 v44, 8, v20
	v_or_b32_sdwa v40, v40, v41 dst_sel:DWORD dst_unused:UNUSED_PAD src0_sel:WORD_0 src1_sel:DWORD
	v_lshlrev_b16 v45, 8, v45
	v_cndmask_b32_e32 v46, 22, v46, vcc_lo
	v_cmp_ne_u32_e32 vcc_lo, 12, v26
	v_lshrrev_b32_e32 v41, 24, v21
	v_lshlrev_b16 v46, 8, v46
	v_cndmask_b32_e32 v48, 22, v22, vcc_lo
	v_cmp_ne_u32_e32 vcc_lo, 14, v26
	v_or_b32_sdwa v42, v48, v45 dst_sel:DWORD dst_unused:UNUSED_PAD src0_sel:BYTE_0 src1_sel:DWORD
	v_cndmask_b32_e32 v47, 22, v47, vcc_lo
	v_cmp_ne_u32_e32 vcc_lo, 9, v26
	v_lshrrev_b32_e32 v45, 24, v20
	v_or_b32_sdwa v43, v47, v46 dst_sel:WORD_1 dst_unused:UNUSED_PAD src0_sel:BYTE_0 src1_sel:DWORD
	v_cndmask_b32_e32 v35, 22, v35, vcc_lo
	v_cmp_ne_u32_e32 vcc_lo, 11, v26
	v_lshrrev_b32_e32 v47, 16, v20
	v_lshrrev_b32_e32 v46, 16, v21
	v_or_b32_sdwa v42, v42, v43 dst_sel:DWORD dst_unused:UNUSED_PAD src0_sel:WORD_0 src1_sel:DWORD
	v_lshlrev_b16 v35, 8, v35
	v_cndmask_b32_e32 v41, 22, v41, vcc_lo
	v_cmp_ne_u32_e32 vcc_lo, 8, v26
	v_lshlrev_b16 v41, 8, v41
	v_cndmask_b32_e32 v43, 22, v21, vcc_lo
	v_cmp_ne_u32_e32 vcc_lo, 5, v26
	v_or_b32_sdwa v35, v43, v35 dst_sel:DWORD dst_unused:UNUSED_PAD src0_sel:BYTE_0 src1_sel:DWORD
	v_cndmask_b32_e32 v44, 22, v44, vcc_lo
	v_cmp_ne_u32_e32 vcc_lo, 7, v26
	v_lshlrev_b16 v44, 8, v44
	v_cndmask_b32_e32 v45, 22, v45, vcc_lo
	v_cmp_ne_u32_e32 vcc_lo, 4, v26
	v_lshlrev_b16 v45, 8, v45
	v_cndmask_b32_e32 v48, 22, v20, vcc_lo
	v_cmp_ne_u32_e32 vcc_lo, 6, v26
	v_cndmask_b32_e64 v26, 22, v46, s4
	v_cmp_ne_u32_e64 s4, 1, v24
	v_cndmask_b32_e32 v47, 22, v47, vcc_lo
	v_cmp_eq_u32_e32 vcc_lo, 0, v28
	v_or_b32_sdwa v28, v48, v44 dst_sel:DWORD dst_unused:UNUSED_PAD src0_sel:BYTE_0 src1_sel:DWORD
	v_or_b32_sdwa v26, v26, v41 dst_sel:WORD_1 dst_unused:UNUSED_PAD src0_sel:BYTE_0 src1_sel:DWORD
	v_cndmask_b32_e32 v19, v29, v19, vcc_lo
	v_or_b32_sdwa v29, v47, v45 dst_sel:WORD_1 dst_unused:UNUSED_PAD src0_sel:BYTE_0 src1_sel:DWORD
	v_or_b32_sdwa v26, v35, v26 dst_sel:DWORD dst_unused:UNUSED_PAD src0_sel:WORD_0 src1_sel:DWORD
	v_cndmask_b32_e32 v25, v34, v25, vcc_lo
	v_cndmask_b32_e32 v34, v42, v22, vcc_lo
	v_lshrrev_b32_e32 v43, 8, v19
	v_lshrrev_b32_e32 v41, 24, v19
	v_or_b32_sdwa v28, v28, v29 dst_sel:DWORD dst_unused:UNUSED_PAD src0_sel:WORD_0 src1_sel:DWORD
	v_cndmask_b32_e32 v26, v26, v21, vcc_lo
	v_lshrrev_b32_e32 v21, 8, v25
	v_cndmask_b32_e64 v29, 23, v43, s4
	v_cmp_ne_u32_e64 s4, 3, v24
	v_lshrrev_b32_e32 v43, 16, v19
	v_lshrrev_b32_e32 v22, 24, v25
	v_cndmask_b32_e32 v35, v40, v23, vcc_lo
	v_lshlrev_b16 v29, 8, v29
	v_cndmask_b32_e64 v41, 23, v41, s4
	v_cmp_ne_u32_e64 s4, 0, v24
	v_cndmask_b32_e32 v28, v28, v20, vcc_lo
	v_cmp_eq_u32_e32 vcc_lo, 0, v27
	v_lshrrev_b32_e32 v27, 8, v35
	v_lshlrev_b16 v41, 8, v41
	v_cndmask_b32_e64 v44, 23, v19, s4
	v_cmp_ne_u32_e64 s4, 2, v24
	v_lshrrev_b32_e32 v40, 24, v35
	v_lshrrev_b32_e32 v46, 16, v26
	;; [unrolled: 1-line block ×3, first 2 shown]
	v_or_b32_sdwa v20, v44, v29 dst_sel:DWORD dst_unused:UNUSED_PAD src0_sel:BYTE_0 src1_sel:DWORD
	v_cndmask_b32_e64 v43, 23, v43, s4
	v_cmp_ne_u32_e64 s4, 21, v24
	v_lshrrev_b32_e32 v48, 24, v28
	v_lshrrev_b32_e32 v49, 16, v28
	;; [unrolled: 1-line block ×3, first 2 shown]
	v_or_b32_sdwa v29, v43, v41 dst_sel:WORD_1 dst_unused:UNUSED_PAD src0_sel:BYTE_0 src1_sel:DWORD
	v_cndmask_b32_e64 v21, 23, v21, s4
	v_cmp_ne_u32_e64 s4, 23, v24
	v_lshrrev_b32_e32 v43, 24, v26
	v_or_b32_sdwa v20, v20, v29 dst_sel:DWORD dst_unused:UNUSED_PAD src0_sel:WORD_0 src1_sel:DWORD
	v_lshrrev_b32_e32 v29, 16, v25
	v_cndmask_b32_e64 v22, 23, v22, s4
	v_cmp_ne_u32_e64 s4, 20, v24
	v_lshlrev_b16 v21, 8, v21
	v_cndmask_b32_e32 v20, v20, v19, vcc_lo
	v_mov_b32_e32 v19, 0
	v_lshlrev_b16 v22, 8, v22
	v_cndmask_b32_e64 v23, 23, v25, s4
	v_cmp_ne_u32_e64 s4, 17, v24
	v_lshrrev_b32_e32 v62, 8, v20
	v_or_b32_sdwa v21, v23, v21 dst_sel:DWORD dst_unused:UNUSED_PAD src0_sel:BYTE_0 src1_sel:DWORD
	v_cndmask_b32_e64 v27, 23, v27, s4
	v_cmp_ne_u32_e64 s4, 22, v24
	v_lshrrev_b32_e32 v23, 8, v34
	v_lshlrev_b16 v27, 8, v27
	v_cndmask_b32_e64 v29, 23, v29, s4
	v_cmp_ne_u32_e64 s4, 16, v24
	v_or_b32_sdwa v22, v29, v22 dst_sel:WORD_1 dst_unused:UNUSED_PAD src0_sel:BYTE_0 src1_sel:DWORD
	v_cndmask_b32_e64 v41, 23, v35, s4
	v_cmp_ne_u32_e64 s4, 19, v24
	v_or_b32_sdwa v27, v41, v27 dst_sel:DWORD dst_unused:UNUSED_PAD src0_sel:BYTE_0 src1_sel:DWORD
	v_cndmask_b32_e64 v40, 23, v40, s4
	v_cmp_ne_u32_e64 s4, 13, v24
	v_lshrrev_b32_e32 v41, 24, v34
	v_lshlrev_b16 v29, 8, v40
	v_cndmask_b32_e64 v23, 23, v23, s4
	v_cmp_ne_u32_e64 s4, 12, v24
	v_lshrrev_b32_e32 v40, 16, v35
	v_lshlrev_b16 v23, 8, v23
	v_cndmask_b32_e64 v42, 23, v34, s4
	v_cmp_ne_u32_e64 s4, 15, v24
	v_or_b32_sdwa v23, v42, v23 dst_sel:DWORD dst_unused:UNUSED_PAD src0_sel:BYTE_0 src1_sel:DWORD
	v_cndmask_b32_e64 v41, 23, v41, s4
	v_cmp_ne_u32_e64 s4, 18, v24
	v_lshrrev_b32_e32 v42, 8, v26
	v_lshlrev_b16 v41, 8, v41
	v_cndmask_b32_e64 v40, 23, v40, s4
	v_cmp_ne_u32_e64 s4, 9, v24
	v_or_b32_sdwa v29, v40, v29 dst_sel:WORD_1 dst_unused:UNUSED_PAD src0_sel:BYTE_0 src1_sel:DWORD
	v_cndmask_b32_e64 v42, 23, v42, s4
	v_cmp_ne_u32_e64 s4, 11, v24
	v_or_b32_sdwa v40, v21, v22 dst_sel:DWORD dst_unused:UNUSED_PAD src0_sel:WORD_0 src1_sel:DWORD
	v_lshlrev_b16 v42, 8, v42
	v_cndmask_b32_e64 v43, 23, v43, s4
	v_cmp_ne_u32_e64 s4, 8, v24
	v_cndmask_b32_e32 v25, v40, v25, vcc_lo
	v_lshlrev_b16 v43, 8, v43
	v_cndmask_b32_e64 v45, 23, v26, s4
	v_cmp_ne_u32_e64 s4, 10, v24
	v_lshrrev_b32_e32 v73, 8, v25
	v_or_b32_sdwa v42, v45, v42 dst_sel:DWORD dst_unused:UNUSED_PAD src0_sel:BYTE_0 src1_sel:DWORD
	v_cndmask_b32_e64 v46, 23, v46, s4
	v_cmp_ne_u32_e64 s4, 5, v24
	v_or_b32_sdwa v43, v46, v43 dst_sel:WORD_1 dst_unused:UNUSED_PAD src0_sel:BYTE_0 src1_sel:DWORD
	v_cndmask_b32_e64 v47, 23, v47, s4
	v_cmp_ne_u32_e64 s4, 7, v24
	v_or_b32_sdwa v22, v42, v43 dst_sel:DWORD dst_unused:UNUSED_PAD src0_sel:WORD_0 src1_sel:DWORD
	v_lshlrev_b16 v47, 8, v47
	v_cndmask_b32_e64 v48, 23, v48, s4
	v_cmp_ne_u32_e64 s4, 4, v24
	v_cndmask_b32_e32 v22, v22, v26, vcc_lo
	v_lshlrev_b16 v48, 8, v48
	v_cndmask_b32_e64 v50, 23, v28, s4
	v_cmp_ne_u32_e64 s4, 6, v24
	v_lshrrev_b32_e32 v65, 16, v22
	v_lshrrev_b32_e32 v66, 8, v22
	v_cndmask_b32_e64 v49, 23, v49, s4
	v_cmp_ne_u32_e64 s4, 14, v24
	v_or_b32_sdwa v45, v49, v48 dst_sel:WORD_1 dst_unused:UNUSED_PAD src0_sel:BYTE_0 src1_sel:DWORD
	v_cndmask_b32_e64 v24, 23, v44, s4
	v_or_b32_sdwa v44, v50, v47 dst_sel:DWORD dst_unused:UNUSED_PAD src0_sel:BYTE_0 src1_sel:DWORD
	s_mov_b64 s[4:5], 0
	v_or_b32_sdwa v24, v24, v41 dst_sel:WORD_1 dst_unused:UNUSED_PAD src0_sel:BYTE_0 src1_sel:DWORD
	v_or_b32_sdwa v21, v44, v45 dst_sel:DWORD dst_unused:UNUSED_PAD src0_sel:WORD_0 src1_sel:DWORD
	v_or_b32_sdwa v23, v23, v24 dst_sel:DWORD dst_unused:UNUSED_PAD src0_sel:WORD_0 src1_sel:DWORD
	;; [unrolled: 1-line block ×3, first 2 shown]
	v_cndmask_b32_e32 v21, v21, v28, vcc_lo
	v_cndmask_b32_e32 v23, v23, v34, vcc_lo
	;; [unrolled: 1-line block ×3, first 2 shown]
	v_lshrrev_b64 v[26:27], 24, v[20:21]
	v_lshrrev_b32_e32 v63, 16, v21
	v_lshrrev_b32_e32 v64, 8, v21
	v_lshrrev_b64 v[27:28], 24, v[22:23]
	v_lshrrev_b64 v[28:29], 24, v[24:25]
	v_lshrrev_b32_e32 v29, 24, v21
	v_lshrrev_b32_e32 v67, 24, v23
	;; [unrolled: 1-line block ×6, first 2 shown]
	s_branch .LBB2_318
.LBB2_316:                              ;   in Loop: Header=BB2_318 Depth=1
	s_or_b32 exec_lo, exec_lo, s11
	v_mov_b32_e32 v78, v75
	v_mov_b32_e32 v75, v77
.LBB2_317:                              ;   in Loop: Header=BB2_318 Depth=1
	s_or_b32 exec_lo, exec_lo, s10
	v_lshl_add_u32 v87, v75, 3, 0xd0
	v_lshl_add_u32 v78, v78, 3, 0xd0
	s_waitcnt vmcnt(20)
	v_add_f64 v[34:35], v[34:35], v[44:45]
	s_waitcnt vmcnt(12)
	v_add_f64 v[44:45], v[46:47], v[48:49]
	s_add_u32 s4, s4, 1
	s_clause 0xb
	buffer_load_dword v76, v87, s[0:3], 0 offen offset:68
	buffer_load_dword v77, v87, s[0:3], 0 offen offset:128
	;; [unrolled: 1-line block ×3, first 2 shown]
	buffer_load_dword v79, v87, s[0:3], 0 offen
	buffer_load_dword v82, v78, s[0:3], 0 offen offset:68
	buffer_load_dword v83, v78, s[0:3], 0 offen offset:128
	;; [unrolled: 1-line block ×5, first 2 shown]
	buffer_load_dword v85, v78, s[0:3], 0 offen
	buffer_load_dword v86, v78, s[0:3], 0 offen offset:4
	buffer_load_dword v78, v87, s[0:3], 0 offen offset:132
	s_addc_u32 s5, s5, 0
	v_cmp_eq_u64_e32 vcc_lo, s[4:5], v[18:19]
	s_or_b32 s9, vcc_lo, s9
	v_add_f64 v[34:35], v[34:35], v[42:43]
	s_waitcnt vmcnt(20)
	v_add_f64 v[42:43], v[52:53], v[50:51]
	s_waitcnt vmcnt(18)
	v_add_f64 v[44:45], v[44:45], v[58:59]
	v_add_f64 v[34:35], v[34:35], v[40:41]
	s_waitcnt vmcnt(12)
	v_add_f64 v[40:41], v[42:43], v[60:61]
	v_add_f64 v[42:43], v[44:45], v[54:55]
	v_fma_f64 v[34:35], 0x3fd00000, v[34:35], -v[0:1]
	v_add_f64 v[46:47], v[40:41], v[56:57]
	v_fma_f64 v[40:41], 0x3fd00000, v[42:43], -v[4:5]
	v_mul_f64 v[34:35], v[32:33], v[34:35]
	v_fma_f64 v[42:43], 0x3fd00000, v[46:47], -v[8:9]
	s_waitcnt vmcnt(5)
	v_add_f64 v[48:49], v[81:82], -v[4:5]
	s_waitcnt vmcnt(4)
	v_add_f64 v[50:51], v[79:80], -v[0:1]
	;; [unrolled: 2-line block ×4, first 2 shown]
	v_add_f64 v[44:45], v[75:76], -v[4:5]
	s_waitcnt vmcnt(0)
	v_add_f64 v[60:61], v[77:78], -v[8:9]
	v_mul_f64 v[54:55], v[6:7], v[48:49]
	v_fma_f64 v[56:57], -v[32:33], v[50:51], v[34:35]
	v_add_f64 v[75:76], v[42:43], v[46:47]
	v_fma_f64 v[87:88], v[32:33], v[50:51], v[34:35]
	v_mul_f64 v[77:78], v[32:33], v[52:53]
	v_mul_f64 v[44:45], v[6:7], v[44:45]
	v_fma_f64 v[79:80], v[32:33], v[52:53], v[34:35]
	v_fma_f64 v[52:53], v[32:33], v[52:53], -v[34:35]
	v_add_f64 v[83:84], v[42:43], v[60:61]
	v_add_f64 v[89:90], v[46:47], v[60:61]
	v_fma_f64 v[81:82], v[6:7], v[40:41], v[54:55]
	v_mul_f64 v[85:86], v[75:76], 0.5
	v_fma_f64 v[75:76], v[75:76], 0.5, 0
	v_fma_f64 v[91:92], v[32:33], v[50:51], -v[77:78]
	v_fma_f64 v[58:59], v[6:7], v[40:41], v[44:45]
	v_fma_f64 v[79:80], v[36:37], v[79:80], v[0:1]
	;; [unrolled: 1-line block ×4, first 2 shown]
	v_mul_f64 v[95:96], v[89:90], 0.5
	v_fma_f64 v[97:98], v[32:33], v[50:51], v[77:78]
	v_mul_f64 v[50:51], v[32:33], v[50:51]
	v_fma_f64 v[93:94], v[85:86], 0.5, v[8:9]
	v_fma_f64 v[75:76], v[83:84], 0.5, v[75:76]
	v_mul_f64 v[56:57], v[56:57], v[58:59]
	v_fma_f64 v[79:80], v[79:80], v[85:86], 0
	v_fma_f64 v[58:59], v[38:39], v[58:59], v[4:5]
	ds_write2_b64 v69, v[77:78], v[50:51] offset1:2
	ds_write2_b64 v69, v[54:55], v[44:45] offset0:10 offset1:12
	ds_write2_b64 v69, v[46:47], v[60:61] offset0:20 offset1:22
	v_fma_f64 v[75:76], v[89:90], 0.5, v[75:76]
	v_fma_f64 v[52:53], v[52:53], v[81:82], v[56:57]
	v_mul_f64 v[56:57], v[83:84], 0.5
	v_fma_f64 v[81:82], v[38:39], v[81:82], v[4:5]
	v_fma_f64 v[83:84], v[36:37], v[97:98], v[0:1]
	;; [unrolled: 1-line block ×3, first 2 shown]
	v_fma_f64 v[91:92], v[56:57], 0.5, v[8:9]
	v_fma_f64 v[81:82], v[81:82], v[85:86], 0
	v_fma_f64 v[85:86], v[85:86], v[93:94], 0
	;; [unrolled: 1-line block ×3, first 2 shown]
	v_fma_f64 v[93:94], v[95:96], 0.5, v[8:9]
	v_fma_f64 v[79:80], v[87:88], v[56:57], v[79:80]
	v_mul_f64 v[52:53], v[52:53], 0.5
	v_fma_f64 v[58:59], v[58:59], v[56:57], v[81:82]
	v_fma_f64 v[56:57], v[56:57], v[91:92], v[85:86]
	;; [unrolled: 1-line block ×3, first 2 shown]
	v_mul_f64 v[52:53], v[52:53], s[6:7]
	v_fma_f64 v[48:49], v[48:49], v[95:96], v[58:59]
	v_fma_f64 v[56:57], v[95:96], v[93:94], v[56:57]
	v_fma_f64 v[58:59], v[52:53], v[75:76], 0
	v_fma_f64 v[75:76], v[52:53], v[79:80], 0
	v_fma_f64 v[48:49], v[52:53], v[48:49], 0
	v_fma_f64 v[52:53], v[52:53], v[56:57], 0
	v_fma_f64 v[14:15], v[2:3], v[58:59], v[14:15]
	v_fma_f64 v[16:17], v[2:3], v[75:76], v[16:17]
	v_fma_f64 v[10:11], v[2:3], v[48:49], v[10:11]
	v_fma_f64 v[12:13], v[2:3], v[52:53], v[12:13]
	s_andn2_b32 exec_lo, exec_lo, s9
	s_cbranch_execz .LBB2_343
.LBB2_318:                              ; =>This Inner Loop Header: Depth=1
	s_cmp_eq_u32 s4, 1
	s_mov_b32 s10, exec_lo
	s_cselect_b32 vcc_lo, -1, 0
	s_cmp_eq_u32 s4, 2
	v_cndmask_b32_e32 v34, v20, v62, vcc_lo
	s_cselect_b32 vcc_lo, -1, 0
	s_cmp_eq_u32 s4, 3
                                        ; implicit-def: $vgpr79
                                        ; implicit-def: $vgpr41
                                        ; implicit-def: $vgpr76
                                        ; implicit-def: $vgpr40
                                        ; implicit-def: $vgpr77
                                        ; implicit-def: $vgpr42
                                        ; implicit-def: $vgpr35
	v_cndmask_b32_sdwa v34, v34, v20, vcc_lo dst_sel:DWORD dst_unused:UNUSED_PAD src0_sel:DWORD src1_sel:WORD_1
	s_cselect_b32 vcc_lo, -1, 0
	s_cmp_eq_u32 s4, 4
	v_cndmask_b32_e32 v34, v34, v26, vcc_lo
	s_cselect_b32 vcc_lo, -1, 0
	s_cmp_eq_u32 s4, 5
	v_cndmask_b32_e32 v34, v34, v21, vcc_lo
	;; [unrolled: 3-line block ×19, first 2 shown]
	s_cselect_b32 vcc_lo, -1, 0
	s_cmp_eq_u32 s4, 23
	v_cndmask_b32_sdwa v34, v34, v25, vcc_lo dst_sel:DWORD dst_unused:UNUSED_PAD src0_sel:DWORD src1_sel:WORD_1
	s_cselect_b32 vcc_lo, -1, 0
	v_cndmask_b32_sdwa v78, v34, v25, vcc_lo dst_sel:DWORD dst_unused:UNUSED_PAD src0_sel:DWORD src1_sel:BYTE_3
	v_bfe_u32 v75, v78, 2, 6
	v_cmpx_lt_i32_e32 1, v75
	s_xor_b32 s10, exec_lo, s10
	s_cbranch_execz .LBB2_330
; %bb.319:                              ;   in Loop: Header=BB2_318 Depth=1
	s_mov_b32 s11, exec_lo
                                        ; implicit-def: $vgpr79
                                        ; implicit-def: $vgpr41
                                        ; implicit-def: $vgpr76
                                        ; implicit-def: $vgpr40
                                        ; implicit-def: $vgpr77
                                        ; implicit-def: $vgpr42
                                        ; implicit-def: $vgpr35
	v_cmpx_lt_i32_e32 2, v75
	s_xor_b32 s11, exec_lo, s11
	s_cbranch_execz .LBB2_327
; %bb.320:                              ;   in Loop: Header=BB2_318 Depth=1
	s_mov_b32 s12, exec_lo
                                        ; implicit-def: $vgpr79
                                        ; implicit-def: $vgpr41
                                        ; implicit-def: $vgpr76
                                        ; implicit-def: $vgpr40
                                        ; implicit-def: $vgpr77
                                        ; implicit-def: $vgpr42
                                        ; implicit-def: $vgpr35
	v_cmpx_lt_i32_e32 3, v75
	s_xor_b32 s12, exec_lo, s12
	s_cbranch_execz .LBB2_324
; %bb.321:                              ;   in Loop: Header=BB2_318 Depth=1
	s_mov_b32 s13, exec_lo
	v_cmpx_ne_u32_e32 4, v75
	s_xor_b32 s13, exec_lo, s13
	s_or_saveexec_b32 s13, s13
	v_mov_b32_e32 v75, 4
	v_mov_b32_e32 v77, 6
	;; [unrolled: 1-line block ×8, first 2 shown]
	s_xor_b32 exec_lo, exec_lo, s13
	s_cbranch_execz .LBB2_323
; %bb.322:                              ;   in Loop: Header=BB2_318 Depth=1
	v_mov_b32_e32 v75, 0
	v_mov_b32_e32 v77, 1
	;; [unrolled: 1-line block ×8, first 2 shown]
.LBB2_323:                              ;   in Loop: Header=BB2_318 Depth=1
	s_or_b32 exec_lo, exec_lo, s13
.LBB2_324:                              ;   in Loop: Header=BB2_318 Depth=1
	s_andn2_saveexec_b32 s12, s12
	s_cbranch_execz .LBB2_326
; %bb.325:                              ;   in Loop: Header=BB2_318 Depth=1
	v_mov_b32_e32 v75, 2
	v_mov_b32_e32 v77, 3
	;; [unrolled: 1-line block ×8, first 2 shown]
.LBB2_326:                              ;   in Loop: Header=BB2_318 Depth=1
	s_or_b32 exec_lo, exec_lo, s12
.LBB2_327:                              ;   in Loop: Header=BB2_318 Depth=1
	s_andn2_saveexec_b32 s11, s11
	s_cbranch_execz .LBB2_329
; %bb.328:                              ;   in Loop: Header=BB2_318 Depth=1
	v_mov_b32_e32 v75, 0
	v_mov_b32_e32 v77, 4
	;; [unrolled: 1-line block ×8, first 2 shown]
.LBB2_329:                              ;   in Loop: Header=BB2_318 Depth=1
	s_or_b32 exec_lo, exec_lo, s11
.LBB2_330:                              ;   in Loop: Header=BB2_318 Depth=1
	s_andn2_saveexec_b32 s10, s10
	s_cbranch_execz .LBB2_334
; %bb.331:                              ;   in Loop: Header=BB2_318 Depth=1
	v_mov_b32_e32 v77, 2
	v_mov_b32_e32 v76, 6
	;; [unrolled: 1-line block ×7, first 2 shown]
	s_mov_b32 s11, exec_lo
	v_cmpx_lt_i32_e32 0, v75
	s_cbranch_execz .LBB2_333
; %bb.332:                              ;   in Loop: Header=BB2_318 Depth=1
	v_mov_b32_e32 v75, 1
	v_mov_b32_e32 v77, 5
	;; [unrolled: 1-line block ×8, first 2 shown]
.LBB2_333:                              ;   in Loop: Header=BB2_318 Depth=1
	s_or_b32 exec_lo, exec_lo, s11
.LBB2_334:                              ;   in Loop: Header=BB2_318 Depth=1
	s_or_b32 exec_lo, exec_lo, s10
	v_lshl_add_u32 v52, v75, 3, 0xd0
	v_lshl_add_u32 v50, v77, 3, 0xd0
	;; [unrolled: 1-line block ×4, first 2 shown]
	s_clause 0x17
	buffer_load_dword v34, v35, s[0:3], 0 offen
	buffer_load_dword v35, v35, s[0:3], 0 offen offset:4
	buffer_load_dword v44, v42, s[0:3], 0 offen
	buffer_load_dword v45, v42, s[0:3], 0 offen offset:4
	;; [unrolled: 2-line block ×4, first 2 shown]
	buffer_load_dword v46, v52, s[0:3], 0 offen offset:64
	buffer_load_dword v47, v52, s[0:3], 0 offen offset:68
	;; [unrolled: 1-line block ×16, first 2 shown]
	v_and_b32_sdwa v80, v78, v74 dst_sel:DWORD dst_unused:UNUSED_PAD src0_sel:BYTE_0 src1_sel:DWORD
	s_mov_b32 s10, exec_lo
                                        ; implicit-def: $vgpr78
	v_cmpx_lt_i32_e32 1, v80
	s_xor_b32 s10, exec_lo, s10
	s_cbranch_execz .LBB2_340
; %bb.335:                              ;   in Loop: Header=BB2_318 Depth=1
	s_mov_b32 s11, exec_lo
	v_cmpx_lt_i32_e32 2, v80
	s_xor_b32 s11, exec_lo, s11
; %bb.336:                              ;   in Loop: Header=BB2_318 Depth=1
                                        ; implicit-def: $vgpr76
; %bb.337:                              ;   in Loop: Header=BB2_318 Depth=1
	s_or_saveexec_b32 s11, s11
	v_mov_b32_e32 v78, v79
	s_xor_b32 exec_lo, exec_lo, s11
; %bb.338:                              ;   in Loop: Header=BB2_318 Depth=1
	v_mov_b32_e32 v78, v76
	v_mov_b32_e32 v75, v79
; %bb.339:                              ;   in Loop: Header=BB2_318 Depth=1
	s_or_b32 exec_lo, exec_lo, s11
                                        ; implicit-def: $vgpr77
                                        ; implicit-def: $vgpr76
                                        ; implicit-def: $vgpr80
.LBB2_340:                              ;   in Loop: Header=BB2_318 Depth=1
	s_andn2_saveexec_b32 s10, s10
	s_cbranch_execz .LBB2_317
; %bb.341:                              ;   in Loop: Header=BB2_318 Depth=1
	s_mov_b32 s11, exec_lo
	v_cmpx_eq_u32_e32 1, v80
	s_cbranch_execz .LBB2_316
; %bb.342:                              ;   in Loop: Header=BB2_318 Depth=1
	v_mov_b32_e32 v75, v77
	v_mov_b32_e32 v77, v76
	s_branch .LBB2_316
.LBB2_343:
	s_or_b32 exec_lo, exec_lo, s9
	v_mul_f64 v[0:1], v[6:7], v[40:41]
	ds_write2_b64 v69, v[34:35], v[0:1] offset0:1 offset1:11
	ds_write_b64 v69, v[42:43] offset:168
.LBB2_344:
	s_or_b32 exec_lo, exec_lo, s8
	v_lshlrev_b64 v[0:1], 5, v[30:31]
	v_add_co_u32 v0, vcc_lo, s16, v0
	v_add_co_ci_u32_e64 v1, null, s17, v1, vcc_lo
	global_store_dwordx4 v[0:1], v[14:17], off
	global_store_dwordx4 v[0:1], v[10:13], off offset:16
.LBB2_345:
	s_endpgm
	.section	.rodata,"a",@progbits
	.p2align	6, 0x0
	.amdhsa_kernel _ZN4RAJA6policy3hip4impl18forallp_hip_kernelINS1_8hip_execINS_17iteration_mapping6DirectENS_3hip11IndexGlobalILNS_9named_dimE0ELi64ELi0EEENS7_40AvoidDeviceMaxThreadOccupancyConcretizerINS7_34FractionOffsetOccupancyConcretizerINS_8FractionImLm1ELm1EEELln1EEEEELb1EEENS_9Iterators16numeric_iteratorIllPlEEZN8rajaperf4apps13INTSC_HEXRECT17runHipVariantImplILm64EEEvNSM_9VariantIDEEUllE0_lNS_4expt15ForallParamPackIJEEES6_SA_TnNSt9enable_ifIXaasr3std10is_base_ofINS5_10DirectBaseET4_EE5valuegtsrT5_10block_sizeLi0EEmE4typeELm64EEEvT1_T0_T2_T3_
		.amdhsa_group_segment_fixed_size 15872
		.amdhsa_private_segment_fixed_size 416
		.amdhsa_kernarg_size 92
		.amdhsa_user_sgpr_count 6
		.amdhsa_user_sgpr_private_segment_buffer 1
		.amdhsa_user_sgpr_dispatch_ptr 0
		.amdhsa_user_sgpr_queue_ptr 0
		.amdhsa_user_sgpr_kernarg_segment_ptr 1
		.amdhsa_user_sgpr_dispatch_id 0
		.amdhsa_user_sgpr_flat_scratch_init 0
		.amdhsa_user_sgpr_private_segment_size 0
		.amdhsa_wavefront_size32 1
		.amdhsa_uses_dynamic_stack 0
		.amdhsa_system_sgpr_private_segment_wavefront_offset 1
		.amdhsa_system_sgpr_workgroup_id_x 1
		.amdhsa_system_sgpr_workgroup_id_y 0
		.amdhsa_system_sgpr_workgroup_id_z 0
		.amdhsa_system_sgpr_workgroup_info 0
		.amdhsa_system_vgpr_workitem_id 0
		.amdhsa_next_free_vgpr 193
		.amdhsa_next_free_sgpr 32
		.amdhsa_reserve_vcc 1
		.amdhsa_reserve_flat_scratch 0
		.amdhsa_float_round_mode_32 0
		.amdhsa_float_round_mode_16_64 0
		.amdhsa_float_denorm_mode_32 3
		.amdhsa_float_denorm_mode_16_64 3
		.amdhsa_dx10_clamp 1
		.amdhsa_ieee_mode 1
		.amdhsa_fp16_overflow 0
		.amdhsa_workgroup_processor_mode 1
		.amdhsa_memory_ordered 1
		.amdhsa_forward_progress 1
		.amdhsa_shared_vgpr_count 0
		.amdhsa_exception_fp_ieee_invalid_op 0
		.amdhsa_exception_fp_denorm_src 0
		.amdhsa_exception_fp_ieee_div_zero 0
		.amdhsa_exception_fp_ieee_overflow 0
		.amdhsa_exception_fp_ieee_underflow 0
		.amdhsa_exception_fp_ieee_inexact 0
		.amdhsa_exception_int_div_zero 0
	.end_amdhsa_kernel
	.section	.text._ZN4RAJA6policy3hip4impl18forallp_hip_kernelINS1_8hip_execINS_17iteration_mapping6DirectENS_3hip11IndexGlobalILNS_9named_dimE0ELi64ELi0EEENS7_40AvoidDeviceMaxThreadOccupancyConcretizerINS7_34FractionOffsetOccupancyConcretizerINS_8FractionImLm1ELm1EEELln1EEEEELb1EEENS_9Iterators16numeric_iteratorIllPlEEZN8rajaperf4apps13INTSC_HEXRECT17runHipVariantImplILm64EEEvNSM_9VariantIDEEUllE0_lNS_4expt15ForallParamPackIJEEES6_SA_TnNSt9enable_ifIXaasr3std10is_base_ofINS5_10DirectBaseET4_EE5valuegtsrT5_10block_sizeLi0EEmE4typeELm64EEEvT1_T0_T2_T3_,"axG",@progbits,_ZN4RAJA6policy3hip4impl18forallp_hip_kernelINS1_8hip_execINS_17iteration_mapping6DirectENS_3hip11IndexGlobalILNS_9named_dimE0ELi64ELi0EEENS7_40AvoidDeviceMaxThreadOccupancyConcretizerINS7_34FractionOffsetOccupancyConcretizerINS_8FractionImLm1ELm1EEELln1EEEEELb1EEENS_9Iterators16numeric_iteratorIllPlEEZN8rajaperf4apps13INTSC_HEXRECT17runHipVariantImplILm64EEEvNSM_9VariantIDEEUllE0_lNS_4expt15ForallParamPackIJEEES6_SA_TnNSt9enable_ifIXaasr3std10is_base_ofINS5_10DirectBaseET4_EE5valuegtsrT5_10block_sizeLi0EEmE4typeELm64EEEvT1_T0_T2_T3_,comdat
.Lfunc_end2:
	.size	_ZN4RAJA6policy3hip4impl18forallp_hip_kernelINS1_8hip_execINS_17iteration_mapping6DirectENS_3hip11IndexGlobalILNS_9named_dimE0ELi64ELi0EEENS7_40AvoidDeviceMaxThreadOccupancyConcretizerINS7_34FractionOffsetOccupancyConcretizerINS_8FractionImLm1ELm1EEELln1EEEEELb1EEENS_9Iterators16numeric_iteratorIllPlEEZN8rajaperf4apps13INTSC_HEXRECT17runHipVariantImplILm64EEEvNSM_9VariantIDEEUllE0_lNS_4expt15ForallParamPackIJEEES6_SA_TnNSt9enable_ifIXaasr3std10is_base_ofINS5_10DirectBaseET4_EE5valuegtsrT5_10block_sizeLi0EEmE4typeELm64EEEvT1_T0_T2_T3_, .Lfunc_end2-_ZN4RAJA6policy3hip4impl18forallp_hip_kernelINS1_8hip_execINS_17iteration_mapping6DirectENS_3hip11IndexGlobalILNS_9named_dimE0ELi64ELi0EEENS7_40AvoidDeviceMaxThreadOccupancyConcretizerINS7_34FractionOffsetOccupancyConcretizerINS_8FractionImLm1ELm1EEELln1EEEEELb1EEENS_9Iterators16numeric_iteratorIllPlEEZN8rajaperf4apps13INTSC_HEXRECT17runHipVariantImplILm64EEEvNSM_9VariantIDEEUllE0_lNS_4expt15ForallParamPackIJEEES6_SA_TnNSt9enable_ifIXaasr3std10is_base_ofINS5_10DirectBaseET4_EE5valuegtsrT5_10block_sizeLi0EEmE4typeELm64EEEvT1_T0_T2_T3_
                                        ; -- End function
	.set _ZN4RAJA6policy3hip4impl18forallp_hip_kernelINS1_8hip_execINS_17iteration_mapping6DirectENS_3hip11IndexGlobalILNS_9named_dimE0ELi64ELi0EEENS7_40AvoidDeviceMaxThreadOccupancyConcretizerINS7_34FractionOffsetOccupancyConcretizerINS_8FractionImLm1ELm1EEELln1EEEEELb1EEENS_9Iterators16numeric_iteratorIllPlEEZN8rajaperf4apps13INTSC_HEXRECT17runHipVariantImplILm64EEEvNSM_9VariantIDEEUllE0_lNS_4expt15ForallParamPackIJEEES6_SA_TnNSt9enable_ifIXaasr3std10is_base_ofINS5_10DirectBaseET4_EE5valuegtsrT5_10block_sizeLi0EEmE4typeELm64EEEvT1_T0_T2_T3_.num_vgpr, 127
	.set _ZN4RAJA6policy3hip4impl18forallp_hip_kernelINS1_8hip_execINS_17iteration_mapping6DirectENS_3hip11IndexGlobalILNS_9named_dimE0ELi64ELi0EEENS7_40AvoidDeviceMaxThreadOccupancyConcretizerINS7_34FractionOffsetOccupancyConcretizerINS_8FractionImLm1ELm1EEELln1EEEEELb1EEENS_9Iterators16numeric_iteratorIllPlEEZN8rajaperf4apps13INTSC_HEXRECT17runHipVariantImplILm64EEEvNSM_9VariantIDEEUllE0_lNS_4expt15ForallParamPackIJEEES6_SA_TnNSt9enable_ifIXaasr3std10is_base_ofINS5_10DirectBaseET4_EE5valuegtsrT5_10block_sizeLi0EEmE4typeELm64EEEvT1_T0_T2_T3_.num_agpr, 0
	.set _ZN4RAJA6policy3hip4impl18forallp_hip_kernelINS1_8hip_execINS_17iteration_mapping6DirectENS_3hip11IndexGlobalILNS_9named_dimE0ELi64ELi0EEENS7_40AvoidDeviceMaxThreadOccupancyConcretizerINS7_34FractionOffsetOccupancyConcretizerINS_8FractionImLm1ELm1EEELln1EEEEELb1EEENS_9Iterators16numeric_iteratorIllPlEEZN8rajaperf4apps13INTSC_HEXRECT17runHipVariantImplILm64EEEvNSM_9VariantIDEEUllE0_lNS_4expt15ForallParamPackIJEEES6_SA_TnNSt9enable_ifIXaasr3std10is_base_ofINS5_10DirectBaseET4_EE5valuegtsrT5_10block_sizeLi0EEmE4typeELm64EEEvT1_T0_T2_T3_.numbered_sgpr, 32
	.set _ZN4RAJA6policy3hip4impl18forallp_hip_kernelINS1_8hip_execINS_17iteration_mapping6DirectENS_3hip11IndexGlobalILNS_9named_dimE0ELi64ELi0EEENS7_40AvoidDeviceMaxThreadOccupancyConcretizerINS7_34FractionOffsetOccupancyConcretizerINS_8FractionImLm1ELm1EEELln1EEEEELb1EEENS_9Iterators16numeric_iteratorIllPlEEZN8rajaperf4apps13INTSC_HEXRECT17runHipVariantImplILm64EEEvNSM_9VariantIDEEUllE0_lNS_4expt15ForallParamPackIJEEES6_SA_TnNSt9enable_ifIXaasr3std10is_base_ofINS5_10DirectBaseET4_EE5valuegtsrT5_10block_sizeLi0EEmE4typeELm64EEEvT1_T0_T2_T3_.num_named_barrier, 0
	.set _ZN4RAJA6policy3hip4impl18forallp_hip_kernelINS1_8hip_execINS_17iteration_mapping6DirectENS_3hip11IndexGlobalILNS_9named_dimE0ELi64ELi0EEENS7_40AvoidDeviceMaxThreadOccupancyConcretizerINS7_34FractionOffsetOccupancyConcretizerINS_8FractionImLm1ELm1EEELln1EEEEELb1EEENS_9Iterators16numeric_iteratorIllPlEEZN8rajaperf4apps13INTSC_HEXRECT17runHipVariantImplILm64EEEvNSM_9VariantIDEEUllE0_lNS_4expt15ForallParamPackIJEEES6_SA_TnNSt9enable_ifIXaasr3std10is_base_ofINS5_10DirectBaseET4_EE5valuegtsrT5_10block_sizeLi0EEmE4typeELm64EEEvT1_T0_T2_T3_.private_seg_size, 416
	.set _ZN4RAJA6policy3hip4impl18forallp_hip_kernelINS1_8hip_execINS_17iteration_mapping6DirectENS_3hip11IndexGlobalILNS_9named_dimE0ELi64ELi0EEENS7_40AvoidDeviceMaxThreadOccupancyConcretizerINS7_34FractionOffsetOccupancyConcretizerINS_8FractionImLm1ELm1EEELln1EEEEELb1EEENS_9Iterators16numeric_iteratorIllPlEEZN8rajaperf4apps13INTSC_HEXRECT17runHipVariantImplILm64EEEvNSM_9VariantIDEEUllE0_lNS_4expt15ForallParamPackIJEEES6_SA_TnNSt9enable_ifIXaasr3std10is_base_ofINS5_10DirectBaseET4_EE5valuegtsrT5_10block_sizeLi0EEmE4typeELm64EEEvT1_T0_T2_T3_.uses_vcc, 1
	.set _ZN4RAJA6policy3hip4impl18forallp_hip_kernelINS1_8hip_execINS_17iteration_mapping6DirectENS_3hip11IndexGlobalILNS_9named_dimE0ELi64ELi0EEENS7_40AvoidDeviceMaxThreadOccupancyConcretizerINS7_34FractionOffsetOccupancyConcretizerINS_8FractionImLm1ELm1EEELln1EEEEELb1EEENS_9Iterators16numeric_iteratorIllPlEEZN8rajaperf4apps13INTSC_HEXRECT17runHipVariantImplILm64EEEvNSM_9VariantIDEEUllE0_lNS_4expt15ForallParamPackIJEEES6_SA_TnNSt9enable_ifIXaasr3std10is_base_ofINS5_10DirectBaseET4_EE5valuegtsrT5_10block_sizeLi0EEmE4typeELm64EEEvT1_T0_T2_T3_.uses_flat_scratch, 0
	.set _ZN4RAJA6policy3hip4impl18forallp_hip_kernelINS1_8hip_execINS_17iteration_mapping6DirectENS_3hip11IndexGlobalILNS_9named_dimE0ELi64ELi0EEENS7_40AvoidDeviceMaxThreadOccupancyConcretizerINS7_34FractionOffsetOccupancyConcretizerINS_8FractionImLm1ELm1EEELln1EEEEELb1EEENS_9Iterators16numeric_iteratorIllPlEEZN8rajaperf4apps13INTSC_HEXRECT17runHipVariantImplILm64EEEvNSM_9VariantIDEEUllE0_lNS_4expt15ForallParamPackIJEEES6_SA_TnNSt9enable_ifIXaasr3std10is_base_ofINS5_10DirectBaseET4_EE5valuegtsrT5_10block_sizeLi0EEmE4typeELm64EEEvT1_T0_T2_T3_.has_dyn_sized_stack, 0
	.set _ZN4RAJA6policy3hip4impl18forallp_hip_kernelINS1_8hip_execINS_17iteration_mapping6DirectENS_3hip11IndexGlobalILNS_9named_dimE0ELi64ELi0EEENS7_40AvoidDeviceMaxThreadOccupancyConcretizerINS7_34FractionOffsetOccupancyConcretizerINS_8FractionImLm1ELm1EEELln1EEEEELb1EEENS_9Iterators16numeric_iteratorIllPlEEZN8rajaperf4apps13INTSC_HEXRECT17runHipVariantImplILm64EEEvNSM_9VariantIDEEUllE0_lNS_4expt15ForallParamPackIJEEES6_SA_TnNSt9enable_ifIXaasr3std10is_base_ofINS5_10DirectBaseET4_EE5valuegtsrT5_10block_sizeLi0EEmE4typeELm64EEEvT1_T0_T2_T3_.has_recursion, 0
	.set _ZN4RAJA6policy3hip4impl18forallp_hip_kernelINS1_8hip_execINS_17iteration_mapping6DirectENS_3hip11IndexGlobalILNS_9named_dimE0ELi64ELi0EEENS7_40AvoidDeviceMaxThreadOccupancyConcretizerINS7_34FractionOffsetOccupancyConcretizerINS_8FractionImLm1ELm1EEELln1EEEEELb1EEENS_9Iterators16numeric_iteratorIllPlEEZN8rajaperf4apps13INTSC_HEXRECT17runHipVariantImplILm64EEEvNSM_9VariantIDEEUllE0_lNS_4expt15ForallParamPackIJEEES6_SA_TnNSt9enable_ifIXaasr3std10is_base_ofINS5_10DirectBaseET4_EE5valuegtsrT5_10block_sizeLi0EEmE4typeELm64EEEvT1_T0_T2_T3_.has_indirect_call, 0
	.section	.AMDGPU.csdata,"",@progbits
; Kernel info:
; codeLenInByte = 66564
; TotalNumSgprs: 34
; NumVgprs: 127
; ScratchSize: 416
; MemoryBound: 0
; FloatMode: 240
; IeeeMode: 1
; LDSByteSize: 15872 bytes/workgroup (compile time only)
; SGPRBlocks: 0
; VGPRBlocks: 24
; NumSGPRsForWavesPerEU: 34
; NumVGPRsForWavesPerEU: 193
; Occupancy: 4
; WaveLimiterHint : 1
; COMPUTE_PGM_RSRC2:SCRATCH_EN: 1
; COMPUTE_PGM_RSRC2:USER_SGPR: 6
; COMPUTE_PGM_RSRC2:TRAP_HANDLER: 0
; COMPUTE_PGM_RSRC2:TGID_X_EN: 1
; COMPUTE_PGM_RSRC2:TGID_Y_EN: 0
; COMPUTE_PGM_RSRC2:TGID_Z_EN: 0
; COMPUTE_PGM_RSRC2:TIDIG_COMP_CNT: 0
	.section	.AMDGPU.gpr_maximums,"",@progbits
	.set amdgpu.max_num_vgpr, 0
	.set amdgpu.max_num_agpr, 0
	.set amdgpu.max_num_sgpr, 0
	.section	.AMDGPU.csdata,"",@progbits
	.type	__hip_cuid_5b676afc35047fcd,@object ; @__hip_cuid_5b676afc35047fcd
	.section	.bss,"aw",@nobits
	.globl	__hip_cuid_5b676afc35047fcd
__hip_cuid_5b676afc35047fcd:
	.byte	0                               ; 0x0
	.size	__hip_cuid_5b676afc35047fcd, 1

	.ident	"AMD clang version 22.0.0git (https://github.com/RadeonOpenCompute/llvm-project roc-7.2.4 26084 f58b06dce1f9c15707c5f808fd002e18c2accf7e)"
	.section	".note.GNU-stack","",@progbits
	.addrsig
	.addrsig_sym __hip_cuid_5b676afc35047fcd
	.amdgpu_metadata
---
amdhsa.kernels:
  - .args:
      - .address_space:  global
        .offset:         0
        .size:           8
        .value_kind:     global_buffer
      - .address_space:  global
        .offset:         8
        .size:           8
        .value_kind:     global_buffer
      - .address_space:  global
        .offset:         16
        .size:           8
        .value_kind:     global_buffer
      - .address_space:  global
        .offset:         24
        .size:           8
        .value_kind:     global_buffer
      - .address_space:  global
        .offset:         32
        .size:           8
        .value_kind:     global_buffer
      - .address_space:  global
        .offset:         40
        .size:           8
        .value_kind:     global_buffer
      - .address_space:  global
        .offset:         48
        .size:           8
        .value_kind:     global_buffer
      - .offset:         56
        .size:           8
        .value_kind:     by_value
      - .address_space:  global
        .offset:         64
        .size:           8
        .value_kind:     global_buffer
    .group_segment_fixed_size: 15872
    .kernarg_segment_align: 8
    .kernarg_segment_size: 72
    .language:       OpenCL C
    .language_version:
      - 2
      - 0
    .max_flat_workgroup_size: 64
    .name:           _ZN8rajaperf4apps17intsc_hexrect_hipILm64EEEvPdS2_S2_PiPcS3_S3_lS2_
    .private_segment_fixed_size: 416
    .sgpr_count:     30
    .sgpr_spill_count: 0
    .symbol:         _ZN8rajaperf4apps17intsc_hexrect_hipILm64EEEvPdS2_S2_PiPcS3_S3_lS2_.kd
    .uniform_work_group_size: 1
    .uses_dynamic_stack: false
    .vgpr_count:     126
    .vgpr_spill_count: 0
    .wavefront_size: 32
    .workgroup_processor_mode: 1
  - .args:
      - .offset:         0
        .size:           8
        .value_kind:     by_value
      - .offset:         8
        .size:           8
        .value_kind:     by_value
      - .offset:         16
        .size:           72
        .value_kind:     by_value
    .group_segment_fixed_size: 15872
    .kernarg_segment_align: 8
    .kernarg_segment_size: 88
    .language:       OpenCL C
    .language_version:
      - 2
      - 0
    .max_flat_workgroup_size: 64
    .name:           _ZN8rajaperf17lambda_hip_forallILm64EZNS_4apps13INTSC_HEXRECT17runHipVariantImplILm64EEEvNS_9VariantIDEEUllE_EEvllT0_
    .private_segment_fixed_size: 416
    .sgpr_count:     34
    .sgpr_spill_count: 0
    .symbol:         _ZN8rajaperf17lambda_hip_forallILm64EZNS_4apps13INTSC_HEXRECT17runHipVariantImplILm64EEEvNS_9VariantIDEEUllE_EEvllT0_.kd
    .uniform_work_group_size: 1
    .uses_dynamic_stack: false
    .vgpr_count:     127
    .vgpr_spill_count: 0
    .wavefront_size: 32
    .workgroup_processor_mode: 1
  - .args:
      - .offset:         0
        .size:           72
        .value_kind:     by_value
      - .offset:         72
        .size:           8
        .value_kind:     by_value
      - .offset:         80
        .size:           8
        .value_kind:     by_value
      - .offset:         88
        .size:           1
        .value_kind:     by_value
    .group_segment_fixed_size: 15872
    .kernarg_segment_align: 8
    .kernarg_segment_size: 92
    .language:       OpenCL C
    .language_version:
      - 2
      - 0
    .max_flat_workgroup_size: 64
    .name:           _ZN4RAJA6policy3hip4impl18forallp_hip_kernelINS1_8hip_execINS_17iteration_mapping6DirectENS_3hip11IndexGlobalILNS_9named_dimE0ELi64ELi0EEENS7_40AvoidDeviceMaxThreadOccupancyConcretizerINS7_34FractionOffsetOccupancyConcretizerINS_8FractionImLm1ELm1EEELln1EEEEELb1EEENS_9Iterators16numeric_iteratorIllPlEEZN8rajaperf4apps13INTSC_HEXRECT17runHipVariantImplILm64EEEvNSM_9VariantIDEEUllE0_lNS_4expt15ForallParamPackIJEEES6_SA_TnNSt9enable_ifIXaasr3std10is_base_ofINS5_10DirectBaseET4_EE5valuegtsrT5_10block_sizeLi0EEmE4typeELm64EEEvT1_T0_T2_T3_
    .private_segment_fixed_size: 416
    .sgpr_count:     34
    .sgpr_spill_count: 0
    .symbol:         _ZN4RAJA6policy3hip4impl18forallp_hip_kernelINS1_8hip_execINS_17iteration_mapping6DirectENS_3hip11IndexGlobalILNS_9named_dimE0ELi64ELi0EEENS7_40AvoidDeviceMaxThreadOccupancyConcretizerINS7_34FractionOffsetOccupancyConcretizerINS_8FractionImLm1ELm1EEELln1EEEEELb1EEENS_9Iterators16numeric_iteratorIllPlEEZN8rajaperf4apps13INTSC_HEXRECT17runHipVariantImplILm64EEEvNSM_9VariantIDEEUllE0_lNS_4expt15ForallParamPackIJEEES6_SA_TnNSt9enable_ifIXaasr3std10is_base_ofINS5_10DirectBaseET4_EE5valuegtsrT5_10block_sizeLi0EEmE4typeELm64EEEvT1_T0_T2_T3_.kd
    .uniform_work_group_size: 1
    .uses_dynamic_stack: false
    .vgpr_count:     127
    .vgpr_spill_count: 0
    .wavefront_size: 32
    .workgroup_processor_mode: 1
amdhsa.target:   amdgcn-amd-amdhsa--gfx1030
amdhsa.version:
  - 1
  - 2
...

	.end_amdgpu_metadata
